;; amdgpu-corpus repo=ROCm/rocFFT kind=compiled arch=gfx906 opt=O3
	.text
	.amdgcn_target "amdgcn-amd-amdhsa--gfx906"
	.amdhsa_code_object_version 6
	.protected	fft_rtc_fwd_len442_factors_17_2_13_wgs_238_tpt_34_halfLds_dp_op_CI_CI_unitstride_sbrr_R2C_dirReg ; -- Begin function fft_rtc_fwd_len442_factors_17_2_13_wgs_238_tpt_34_halfLds_dp_op_CI_CI_unitstride_sbrr_R2C_dirReg
	.globl	fft_rtc_fwd_len442_factors_17_2_13_wgs_238_tpt_34_halfLds_dp_op_CI_CI_unitstride_sbrr_R2C_dirReg
	.p2align	8
	.type	fft_rtc_fwd_len442_factors_17_2_13_wgs_238_tpt_34_halfLds_dp_op_CI_CI_unitstride_sbrr_R2C_dirReg,@function
fft_rtc_fwd_len442_factors_17_2_13_wgs_238_tpt_34_halfLds_dp_op_CI_CI_unitstride_sbrr_R2C_dirReg: ; @fft_rtc_fwd_len442_factors_17_2_13_wgs_238_tpt_34_halfLds_dp_op_CI_CI_unitstride_sbrr_R2C_dirReg
; %bb.0:
	s_load_dwordx4 s[8:11], s[4:5], 0x58
	s_load_dwordx4 s[12:15], s[4:5], 0x0
	;; [unrolled: 1-line block ×3, first 2 shown]
	v_mul_u32_u24_e32 v1, 0x788, v0
	s_mov_b64 s[62:63], s[2:3]
	v_lshrrev_b32_e32 v1, 16, v1
	s_mov_b64 s[60:61], s[0:1]
	v_mad_u64_u32 v[3:4], s[0:1], s6, 7, v[1:2]
	v_mov_b32_e32 v5, 0
	v_mov_b32_e32 v1, 0
	;; [unrolled: 1-line block ×3, first 2 shown]
	s_waitcnt lgkmcnt(0)
	v_cmp_lt_u64_e64 s[0:1], s[14:15], 2
	v_mov_b32_e32 v2, 0
	s_add_u32 s60, s60, s7
	v_mov_b32_e32 v109, v2
	v_mov_b32_e32 v113, v4
	s_addc_u32 s61, s61, 0
	s_and_b64 vcc, exec, s[0:1]
	v_mov_b32_e32 v108, v1
	v_mov_b32_e32 v112, v3
	s_cbranch_vccnz .LBB0_8
; %bb.1:
	s_load_dwordx2 s[0:1], s[4:5], 0x10
	s_add_u32 s2, s18, 8
	s_addc_u32 s3, s19, 0
	s_add_u32 s6, s16, 8
	v_mov_b32_e32 v1, 0
	s_addc_u32 s7, s17, 0
	v_mov_b32_e32 v2, 0
	s_waitcnt lgkmcnt(0)
	s_add_u32 s20, s0, 8
	v_mov_b32_e32 v109, v2
	v_mov_b32_e32 v8, v4
	s_addc_u32 s21, s1, 0
	s_mov_b64 s[22:23], 1
	v_mov_b32_e32 v108, v1
	v_mov_b32_e32 v7, v3
.LBB0_2:                                ; =>This Inner Loop Header: Depth=1
	s_load_dwordx2 s[24:25], s[20:21], 0x0
                                        ; implicit-def: $vgpr112_vgpr113
	s_waitcnt lgkmcnt(0)
	v_or_b32_e32 v6, s25, v8
	v_cmp_ne_u64_e32 vcc, 0, v[5:6]
	s_and_saveexec_b64 s[0:1], vcc
	s_xor_b64 s[26:27], exec, s[0:1]
	s_cbranch_execz .LBB0_4
; %bb.3:                                ;   in Loop: Header=BB0_2 Depth=1
	v_cvt_f32_u32_e32 v4, s24
	v_cvt_f32_u32_e32 v6, s25
	s_sub_u32 s0, 0, s24
	s_subb_u32 s1, 0, s25
	v_mac_f32_e32 v4, 0x4f800000, v6
	v_rcp_f32_e32 v4, v4
	v_mul_f32_e32 v4, 0x5f7ffffc, v4
	v_mul_f32_e32 v6, 0x2f800000, v4
	v_trunc_f32_e32 v6, v6
	v_mac_f32_e32 v4, 0xcf800000, v6
	v_cvt_u32_f32_e32 v6, v6
	v_cvt_u32_f32_e32 v4, v4
	v_mul_lo_u32 v9, s0, v6
	v_mul_hi_u32 v10, s0, v4
	v_mul_lo_u32 v12, s1, v4
	v_mul_lo_u32 v11, s0, v4
	v_add_u32_e32 v9, v10, v9
	v_add_u32_e32 v9, v9, v12
	v_mul_hi_u32 v10, v4, v11
	v_mul_lo_u32 v12, v4, v9
	v_mul_hi_u32 v14, v4, v9
	v_mul_hi_u32 v13, v6, v11
	v_mul_lo_u32 v11, v6, v11
	v_mul_hi_u32 v15, v6, v9
	v_add_co_u32_e32 v10, vcc, v10, v12
	v_addc_co_u32_e32 v12, vcc, 0, v14, vcc
	v_mul_lo_u32 v9, v6, v9
	v_add_co_u32_e32 v10, vcc, v10, v11
	v_addc_co_u32_e32 v10, vcc, v12, v13, vcc
	v_addc_co_u32_e32 v11, vcc, 0, v15, vcc
	v_add_co_u32_e32 v9, vcc, v10, v9
	v_addc_co_u32_e32 v10, vcc, 0, v11, vcc
	v_add_co_u32_e32 v4, vcc, v4, v9
	v_addc_co_u32_e32 v6, vcc, v6, v10, vcc
	v_mul_lo_u32 v9, s0, v6
	v_mul_hi_u32 v10, s0, v4
	v_mul_lo_u32 v11, s1, v4
	v_mul_lo_u32 v12, s0, v4
	v_add_u32_e32 v9, v10, v9
	v_add_u32_e32 v9, v9, v11
	v_mul_lo_u32 v13, v4, v9
	v_mul_hi_u32 v14, v4, v12
	v_mul_hi_u32 v15, v4, v9
	;; [unrolled: 1-line block ×3, first 2 shown]
	v_mul_lo_u32 v12, v6, v12
	v_mul_hi_u32 v10, v6, v9
	v_add_co_u32_e32 v13, vcc, v14, v13
	v_addc_co_u32_e32 v14, vcc, 0, v15, vcc
	v_mul_lo_u32 v9, v6, v9
	v_add_co_u32_e32 v12, vcc, v13, v12
	v_addc_co_u32_e32 v11, vcc, v14, v11, vcc
	v_addc_co_u32_e32 v10, vcc, 0, v10, vcc
	v_add_co_u32_e32 v9, vcc, v11, v9
	v_addc_co_u32_e32 v10, vcc, 0, v10, vcc
	v_add_co_u32_e32 v4, vcc, v4, v9
	v_addc_co_u32_e32 v6, vcc, v6, v10, vcc
	v_mad_u64_u32 v[9:10], s[0:1], v7, v6, 0
	v_mul_hi_u32 v11, v7, v4
	v_add_co_u32_e32 v13, vcc, v11, v9
	v_addc_co_u32_e32 v14, vcc, 0, v10, vcc
	v_mad_u64_u32 v[9:10], s[0:1], v8, v4, 0
	v_mad_u64_u32 v[11:12], s[0:1], v8, v6, 0
	v_add_co_u32_e32 v4, vcc, v13, v9
	v_addc_co_u32_e32 v4, vcc, v14, v10, vcc
	v_addc_co_u32_e32 v6, vcc, 0, v12, vcc
	v_add_co_u32_e32 v4, vcc, v4, v11
	v_addc_co_u32_e32 v6, vcc, 0, v6, vcc
	v_mul_lo_u32 v11, s25, v4
	v_mul_lo_u32 v12, s24, v6
	v_mad_u64_u32 v[9:10], s[0:1], s24, v4, 0
	v_add3_u32 v10, v10, v12, v11
	v_sub_u32_e32 v11, v8, v10
	v_mov_b32_e32 v12, s25
	v_sub_co_u32_e32 v9, vcc, v7, v9
	v_subb_co_u32_e64 v11, s[0:1], v11, v12, vcc
	v_subrev_co_u32_e64 v12, s[0:1], s24, v9
	v_subbrev_co_u32_e64 v11, s[0:1], 0, v11, s[0:1]
	v_cmp_le_u32_e64 s[0:1], s25, v11
	v_cndmask_b32_e64 v13, 0, -1, s[0:1]
	v_cmp_le_u32_e64 s[0:1], s24, v12
	v_cndmask_b32_e64 v12, 0, -1, s[0:1]
	v_cmp_eq_u32_e64 s[0:1], s25, v11
	v_cndmask_b32_e64 v11, v13, v12, s[0:1]
	v_add_co_u32_e64 v12, s[0:1], 2, v4
	v_addc_co_u32_e64 v13, s[0:1], 0, v6, s[0:1]
	v_add_co_u32_e64 v14, s[0:1], 1, v4
	v_addc_co_u32_e64 v15, s[0:1], 0, v6, s[0:1]
	v_subb_co_u32_e32 v10, vcc, v8, v10, vcc
	v_cmp_ne_u32_e64 s[0:1], 0, v11
	v_cmp_le_u32_e32 vcc, s25, v10
	v_cndmask_b32_e64 v11, v15, v13, s[0:1]
	v_cndmask_b32_e64 v13, 0, -1, vcc
	v_cmp_le_u32_e32 vcc, s24, v9
	v_cndmask_b32_e64 v9, 0, -1, vcc
	v_cmp_eq_u32_e32 vcc, s25, v10
	v_cndmask_b32_e32 v9, v13, v9, vcc
	v_cmp_ne_u32_e32 vcc, 0, v9
	v_cndmask_b32_e32 v113, v6, v11, vcc
	v_cndmask_b32_e64 v6, v14, v12, s[0:1]
	v_cndmask_b32_e32 v112, v4, v6, vcc
.LBB0_4:                                ;   in Loop: Header=BB0_2 Depth=1
	s_andn2_saveexec_b64 s[0:1], s[26:27]
	s_cbranch_execz .LBB0_6
; %bb.5:                                ;   in Loop: Header=BB0_2 Depth=1
	v_cvt_f32_u32_e32 v4, s24
	s_sub_i32 s26, 0, s24
	v_mov_b32_e32 v113, v5
	v_rcp_iflag_f32_e32 v4, v4
	v_mul_f32_e32 v4, 0x4f7ffffe, v4
	v_cvt_u32_f32_e32 v4, v4
	v_mul_lo_u32 v6, s26, v4
	v_mul_hi_u32 v6, v4, v6
	v_add_u32_e32 v4, v4, v6
	v_mul_hi_u32 v4, v7, v4
	v_mul_lo_u32 v6, v4, s24
	v_add_u32_e32 v9, 1, v4
	v_sub_u32_e32 v6, v7, v6
	v_subrev_u32_e32 v10, s24, v6
	v_cmp_le_u32_e32 vcc, s24, v6
	v_cndmask_b32_e32 v6, v6, v10, vcc
	v_cndmask_b32_e32 v4, v4, v9, vcc
	v_add_u32_e32 v9, 1, v4
	v_cmp_le_u32_e32 vcc, s24, v6
	v_cndmask_b32_e32 v112, v4, v9, vcc
.LBB0_6:                                ;   in Loop: Header=BB0_2 Depth=1
	s_or_b64 exec, exec, s[0:1]
	v_mul_lo_u32 v4, v113, s24
	v_mul_lo_u32 v6, v112, s25
	v_mad_u64_u32 v[9:10], s[0:1], v112, s24, 0
	s_load_dwordx2 s[0:1], s[6:7], 0x0
	s_load_dwordx2 s[24:25], s[2:3], 0x0
	v_add3_u32 v4, v10, v6, v4
	v_sub_co_u32_e32 v6, vcc, v7, v9
	v_subb_co_u32_e32 v4, vcc, v8, v4, vcc
	s_waitcnt lgkmcnt(0)
	v_mul_lo_u32 v7, s0, v4
	v_mul_lo_u32 v8, s1, v6
	v_mad_u64_u32 v[1:2], s[0:1], s0, v6, v[1:2]
	s_add_u32 s22, s22, 1
	s_addc_u32 s23, s23, 0
	s_add_u32 s2, s2, 8
	v_mul_lo_u32 v4, s24, v4
	v_mul_lo_u32 v9, s25, v6
	v_mad_u64_u32 v[108:109], s[0:1], s24, v6, v[108:109]
	v_add3_u32 v2, v8, v2, v7
	s_addc_u32 s3, s3, 0
	v_mov_b32_e32 v6, s14
	s_add_u32 s6, s6, 8
	v_mov_b32_e32 v7, s15
	s_addc_u32 s7, s7, 0
	v_cmp_ge_u64_e32 vcc, s[22:23], v[6:7]
	s_add_u32 s20, s20, 8
	v_add3_u32 v109, v9, v109, v4
	s_addc_u32 s21, s21, 0
	s_cbranch_vccnz .LBB0_8
; %bb.7:                                ;   in Loop: Header=BB0_2 Depth=1
	v_mov_b32_e32 v7, v112
	v_mov_b32_e32 v8, v113
	s_branch .LBB0_2
.LBB0_8:
	s_mov_b32 s0, 0x24924925
	v_mul_hi_u32 v4, v3, s0
	s_load_dwordx2 s[2:3], s[4:5], 0x28
	s_lshl_b64 s[6:7], s[14:15], 3
	s_add_u32 s4, s18, s6
	v_sub_u32_e32 v5, v3, v4
	v_lshrrev_b32_e32 v5, 1, v5
	v_add_u32_e32 v4, v5, v4
	v_lshrrev_b32_e32 v4, 2, v4
	v_mul_lo_u32 v4, v4, 7
	s_waitcnt lgkmcnt(0)
	v_cmp_gt_u64_e64 s[0:1], s[2:3], v[112:113]
	v_cmp_le_u64_e32 vcc, s[2:3], v[112:113]
	s_addc_u32 s5, s19, s7
	v_sub_u32_e32 v3, v3, v4
                                        ; implicit-def: $vgpr110
	s_and_saveexec_b64 s[2:3], vcc
	s_xor_b64 s[2:3], exec, s[2:3]
; %bb.9:
	s_mov_b32 s14, 0x7878788
	v_mul_hi_u32 v1, v0, s14
	v_mul_u32_u24_e32 v1, 34, v1
	v_sub_u32_e32 v110, v0, v1
                                        ; implicit-def: $vgpr0
                                        ; implicit-def: $vgpr1_vgpr2
; %bb.10:
	s_or_saveexec_b64 s[2:3], s[2:3]
	v_mul_u32_u24_e32 v3, 0x1bb, v3
	v_lshlrev_b32_e32 v233, 4, v3
	s_xor_b64 exec, exec, s[2:3]
	s_cbranch_execz .LBB0_12
; %bb.11:
	s_add_u32 s6, s16, s6
	s_addc_u32 s7, s17, s7
	s_load_dwordx2 s[6:7], s[6:7], 0x0
	s_mov_b32 s14, 0x7878788
	v_mul_hi_u32 v5, v0, s14
	s_waitcnt lgkmcnt(0)
	v_mul_lo_u32 v6, s7, v112
	v_mul_lo_u32 v7, s6, v113
	v_mad_u64_u32 v[3:4], s[6:7], s6, v112, 0
	v_mul_u32_u24_e32 v5, 34, v5
	v_sub_u32_e32 v110, v0, v5
	v_add3_u32 v4, v4, v7, v6
	v_lshlrev_b64 v[3:4], 4, v[3:4]
	v_mov_b32_e32 v0, s9
	v_add_co_u32_e32 v3, vcc, s8, v3
	v_addc_co_u32_e32 v4, vcc, v0, v4, vcc
	v_lshlrev_b64 v[0:1], 4, v[1:2]
	v_lshlrev_b32_e32 v56, 4, v110
	v_add_co_u32_e32 v0, vcc, v3, v0
	v_addc_co_u32_e32 v1, vcc, v4, v1, vcc
	v_add_co_u32_e32 v52, vcc, v0, v56
	v_addc_co_u32_e32 v53, vcc, 0, v1, vcc
	v_add_co_u32_e32 v54, vcc, 0x1000, v52
	global_load_dwordx4 v[0:3], v[52:53], off
	global_load_dwordx4 v[4:7], v[52:53], off offset:544
	global_load_dwordx4 v[8:11], v[52:53], off offset:1088
	;; [unrolled: 1-line block ×5, first 2 shown]
	v_addc_co_u32_e32 v55, vcc, 0, v53, vcc
	global_load_dwordx4 v[24:27], v[52:53], off offset:3264
	global_load_dwordx4 v[28:31], v[52:53], off offset:3808
	;; [unrolled: 1-line block ×7, first 2 shown]
	v_add3_u32 v52, 0, v233, v56
	s_waitcnt vmcnt(12)
	ds_write_b128 v52, v[0:3]
	s_waitcnt vmcnt(11)
	ds_write_b128 v52, v[4:7] offset:544
	s_waitcnt vmcnt(10)
	ds_write_b128 v52, v[8:11] offset:1088
	;; [unrolled: 2-line block ×12, first 2 shown]
.LBB0_12:
	s_or_b64 exec, exec, s[2:3]
	v_lshlrev_b32_e32 v111, 4, v110
	v_add3_u32 v232, 0, v111, v233
	s_waitcnt lgkmcnt(0)
	s_barrier
	ds_read_b128 v[8:11], v232 offset:6656
	ds_read_b128 v[16:19], v232 offset:416
	v_add_u32_e32 v230, 0, v233
	v_add_u32_e32 v231, v230, v111
	ds_read_b128 v[20:23], v231
	ds_read_b128 v[32:35], v232 offset:832
	s_waitcnt lgkmcnt(2)
	v_add_f64 v[118:119], v[18:19], -v[10:11]
	v_add_f64 v[116:117], v[16:17], -v[8:9]
	ds_read_b128 v[12:15], v232 offset:6240
	s_mov_b32 s2, 0xeb564b22
	s_mov_b32 s3, 0xbfefdd0d
	v_add_f64 v[114:115], v[16:17], v[8:9]
	v_add_f64 v[152:153], v[18:19], v[10:11]
	s_waitcnt lgkmcnt(0)
	v_add_f64 v[124:125], v[34:35], -v[14:15]
	v_mul_f64 v[88:89], v[118:119], s[2:3]
	v_mul_f64 v[180:181], v[116:117], s[2:3]
	v_add_f64 v[122:123], v[32:33], -v[12:13]
	ds_read_b128 v[28:31], v232 offset:1248
	ds_read_b128 v[24:27], v232 offset:5824
	s_mov_b32 s14, 0x3259b75e
	s_mov_b32 s8, 0xacd6c6b4
	;; [unrolled: 1-line block ×4, first 2 shown]
	v_fma_f64 v[0:1], v[114:115], s[14:15], v[88:89]
	v_add_f64 v[120:121], v[32:33], v[12:13]
	v_mul_f64 v[92:93], v[124:125], s[8:9]
	v_fma_f64 v[2:3], v[152:153], s[14:15], -v[180:181]
	v_add_f64 v[154:155], v[34:35], v[14:15]
	v_mul_f64 v[98:99], v[122:123], s[8:9]
	s_waitcnt lgkmcnt(0)
	v_add_f64 v[130:131], v[30:31], -v[26:27]
	v_add_f64 v[128:129], v[28:29], -v[24:25]
	ds_read_b128 v[36:39], v232 offset:5408
	ds_read_b128 v[44:47], v232 offset:1664
	s_mov_b32 s6, 0x7faef3
	s_mov_b32 s16, 0x923c349f
	;; [unrolled: 1-line block ×6, first 2 shown]
	v_add_f64 v[0:1], v[20:21], v[0:1]
	v_fma_f64 v[4:5], v[120:121], s[6:7], v[92:93]
	v_add_f64 v[2:3], v[22:23], v[2:3]
	v_fma_f64 v[6:7], v[154:155], s[6:7], -v[98:99]
	v_add_f64 v[126:127], v[28:29], v[24:25]
	v_mul_f64 v[90:91], v[130:131], s[18:19]
	v_add_f64 v[136:137], v[30:31], v[26:27]
	v_mul_f64 v[102:103], v[128:129], s[18:19]
	s_waitcnt lgkmcnt(0)
	v_add_f64 v[138:139], v[46:47], -v[38:39]
	v_add_f64 v[134:135], v[44:45], -v[36:37]
	ds_read_b128 v[48:51], v232 offset:2080
	ds_read_b128 v[40:43], v232 offset:4992
	s_mov_b32 s20, 0xc61f0d01
	s_mov_b32 s40, 0x5d8e7cdc
	s_mov_b32 s21, 0xbfd183b1
	s_mov_b32 s41, 0x3fd71e95
	v_add_f64 v[0:1], v[4:5], v[0:1]
	v_add_f64 v[2:3], v[6:7], v[2:3]
	v_fma_f64 v[4:5], v[126:127], s[20:21], v[90:91]
	v_fma_f64 v[6:7], v[136:137], s[20:21], -v[102:103]
	v_add_f64 v[132:133], v[44:45], v[36:37]
	v_mul_f64 v[94:95], v[138:139], s[40:41]
	v_add_f64 v[146:147], v[46:47], v[38:39]
	v_mul_f64 v[184:185], v[134:135], s[40:41]
	s_waitcnt lgkmcnt(0)
	v_add_f64 v[144:145], v[50:51], -v[42:43]
	v_add_f64 v[142:143], v[48:49], -v[40:41]
	ds_read_b128 v[52:55], v232 offset:4576
	ds_read_b128 v[56:59], v232 offset:2496
	s_mov_b32 s22, 0x370991
	s_mov_b32 s24, 0x7c9e640b
	;; [unrolled: 1-line block ×4, first 2 shown]
	v_add_f64 v[0:1], v[4:5], v[0:1]
	v_add_f64 v[2:3], v[6:7], v[2:3]
	v_fma_f64 v[4:5], v[132:133], s[22:23], v[94:95]
	v_fma_f64 v[6:7], v[146:147], s[22:23], -v[184:185]
	v_add_f64 v[140:141], v[48:49], v[40:41]
	v_mul_f64 v[96:97], v[144:145], s[24:25]
	v_add_f64 v[156:157], v[50:51], v[42:43]
	v_mul_f64 v[186:187], v[142:143], s[24:25]
	s_waitcnt lgkmcnt(0)
	v_add_f64 v[158:159], v[58:59], -v[54:55]
	v_add_f64 v[150:151], v[56:57], -v[52:53]
	s_mov_b32 s26, 0x2b2883cd
	s_mov_b32 s36, 0x4363dd80
	;; [unrolled: 1-line block ×6, first 2 shown]
	v_add_f64 v[0:1], v[4:5], v[0:1]
	v_add_f64 v[2:3], v[6:7], v[2:3]
	v_fma_f64 v[4:5], v[140:141], s[26:27], v[96:97]
	v_fma_f64 v[6:7], v[156:157], s[26:27], -v[186:187]
	v_add_f64 v[148:149], v[56:57], v[52:53]
	v_mul_f64 v[182:183], v[158:159], s[28:29]
	v_add_f64 v[160:161], v[58:59], v[54:55]
	v_mul_f64 v[188:189], v[150:151], s[28:29]
	v_mul_f64 v[216:217], v[118:119], s[16:17]
	;; [unrolled: 1-line block ×3, first 2 shown]
	s_mov_b32 s34, 0x910ea3b9
	s_mov_b32 s35, 0xbfeb34fa
	v_add_f64 v[0:1], v[4:5], v[0:1]
	v_add_f64 v[2:3], v[6:7], v[2:3]
	v_fma_f64 v[4:5], v[148:149], s[34:35], v[182:183]
	v_fma_f64 v[6:7], v[160:161], s[34:35], -v[188:189]
	v_fma_f64 v[68:69], v[114:115], s[20:21], v[216:217]
	v_mul_f64 v[212:213], v[124:125], s[36:37]
	v_fma_f64 v[70:71], v[152:153], s[20:21], -v[228:229]
	v_mul_f64 v[226:227], v[122:123], s[36:37]
	s_mov_b32 s48, 0x2a9d6da3
	s_mov_b32 s49, 0x3fe58eea
	v_add_f64 v[0:1], v[4:5], v[0:1]
	v_add_f64 v[2:3], v[6:7], v[2:3]
	v_add_f64 v[4:5], v[20:21], v[68:69]
	v_fma_f64 v[6:7], v[120:121], s[34:35], v[212:213]
	v_add_f64 v[68:69], v[22:23], v[70:71]
	v_fma_f64 v[70:71], v[154:155], s[34:35], -v[226:227]
	v_mul_f64 v[210:211], v[130:131], s[48:49]
	v_mul_f64 v[222:223], v[128:129], s[48:49]
	s_mov_b32 s42, 0x75d4884
	s_mov_b32 s43, 0x3fe7a5f6
	v_mul_f64 v[208:209], v[138:139], s[24:25]
	v_add_f64 v[4:5], v[6:7], v[4:5]
	v_mul_f64 v[224:225], v[134:135], s[24:25]
	v_add_f64 v[6:7], v[70:71], v[68:69]
	v_fma_f64 v[68:69], v[126:127], s[42:43], v[210:211]
	v_fma_f64 v[70:71], v[136:137], s[42:43], -v[222:223]
	v_mul_f64 v[206:207], v[144:145], s[8:9]
	v_mul_f64 v[218:219], v[142:143], s[8:9]
	v_fma_f64 v[76:77], v[132:133], s[26:27], v[208:209]
	ds_read_b128 v[64:67], v232 offset:2912
	ds_read_b128 v[60:63], v232 offset:4160
	v_fma_f64 v[78:79], v[146:147], s[26:27], -v[224:225]
	s_mov_b32 s53, 0x3fefdd0d
	v_add_f64 v[4:5], v[68:69], v[4:5]
	v_add_f64 v[6:7], v[70:71], v[6:7]
	s_mov_b32 s52, s2
	s_waitcnt lgkmcnt(0)
	v_add_f64 v[170:171], v[66:67], -v[62:63]
	v_add_f64 v[164:165], v[64:65], -v[60:61]
	v_mul_f64 v[214:215], v[158:159], s[52:53]
	v_mul_f64 v[220:221], v[150:151], s[52:53]
	ds_read_b128 v[72:75], v232 offset:3328
	ds_read_b128 v[68:71], v232 offset:3744
	v_add_f64 v[4:5], v[76:77], v[4:5]
	v_add_f64 v[6:7], v[78:79], v[6:7]
	v_fma_f64 v[76:77], v[140:141], s[6:7], v[206:207]
	v_fma_f64 v[78:79], v[156:157], s[6:7], -v[218:219]
	s_mov_b32 s46, 0x6c9a05f6
	s_mov_b32 s47, 0x3fe9895b
	;; [unrolled: 1-line block ×4, first 2 shown]
	v_add_f64 v[162:163], v[64:65], v[60:61]
	v_mul_f64 v[190:191], v[170:171], s[46:47]
	v_add_f64 v[172:173], v[66:67], v[62:63]
	v_mul_f64 v[194:195], v[164:165], s[46:47]
	s_waitcnt lgkmcnt(0)
	v_add_f64 v[174:175], v[74:75], -v[70:71]
	v_add_f64 v[166:167], v[72:73], -v[68:69]
	v_add_f64 v[4:5], v[76:77], v[4:5]
	v_add_f64 v[6:7], v[78:79], v[6:7]
	v_fma_f64 v[76:77], v[148:149], s[14:15], v[214:215]
	v_fma_f64 v[78:79], v[160:161], s[14:15], -v[220:221]
	v_mul_f64 v[200:201], v[170:171], s[50:51]
	v_mul_f64 v[202:203], v[164:165], s[50:51]
	s_mov_b32 s38, 0x6ed5f1bb
	s_mov_b32 s39, 0xbfe348c8
	;; [unrolled: 1-line block ×4, first 2 shown]
	v_fma_f64 v[80:81], v[162:163], s[38:39], v[190:191]
	v_fma_f64 v[82:83], v[172:173], s[38:39], -v[194:195]
	v_add_f64 v[168:169], v[72:73], v[68:69]
	v_mul_f64 v[192:193], v[174:175], s[48:49]
	v_add_f64 v[176:177], v[74:75], v[70:71]
	v_mul_f64 v[196:197], v[166:167], s[48:49]
	v_add_f64 v[4:5], v[76:77], v[4:5]
	v_add_f64 v[6:7], v[78:79], v[6:7]
	v_fma_f64 v[76:77], v[162:163], s[22:23], v[200:201]
	v_fma_f64 v[78:79], v[172:173], s[22:23], -v[202:203]
	v_mul_f64 v[198:199], v[174:175], s[44:45]
	v_mul_f64 v[204:205], v[166:167], s[44:45]
	v_add_f64 v[0:1], v[80:81], v[0:1]
	v_add_f64 v[2:3], v[82:83], v[2:3]
	v_fma_f64 v[80:81], v[168:169], s[42:43], v[192:193]
	v_fma_f64 v[82:83], v[176:177], s[42:43], -v[196:197]
	v_add_f64 v[76:77], v[76:77], v[4:5]
	v_add_f64 v[78:79], v[78:79], v[6:7]
	v_fma_f64 v[84:85], v[168:169], s[38:39], v[198:199]
	v_fma_f64 v[86:87], v[176:177], s[38:39], -v[204:205]
	v_cmp_gt_u32_e32 vcc, 26, v110
	v_add_f64 v[4:5], v[80:81], v[0:1]
	v_add_f64 v[6:7], v[82:83], v[2:3]
	s_barrier
	v_add_f64 v[0:1], v[84:85], v[76:77]
	v_add_f64 v[2:3], v[86:87], v[78:79]
	s_and_saveexec_b64 s[30:31], vcc
	s_cbranch_execz .LBB0_14
; %bb.13:
	v_mul_f64 v[76:77], v[152:153], s[6:7]
	v_mul_f64 v[78:79], v[118:119], s[8:9]
	s_mov_b32 s55, 0x3fc7851a
	s_mov_b32 s54, s8
	buffer_store_dword v88, off, s[60:63], 0 offset:40 ; 4-byte Folded Spill
	s_nop 0
	buffer_store_dword v89, off, s[60:63], 0 offset:44 ; 4-byte Folded Spill
	buffer_store_dword v90, off, s[60:63], 0 offset:24 ; 4-byte Folded Spill
	s_nop 0
	buffer_store_dword v91, off, s[60:63], 0 offset:28 ; 4-byte Folded Spill
	;; [unrolled: 3-line block ×4, first 2 shown]
	v_mul_f64 v[86:87], v[154:155], s[22:23]
	v_fma_f64 v[88:89], v[116:117], s[54:55], v[76:77]
	v_mul_f64 v[92:93], v[124:125], s[40:41]
	v_fma_f64 v[94:95], v[114:115], s[6:7], v[78:79]
	v_mul_f64 v[236:237], v[136:137], s[34:35]
	v_mul_f64 v[240:241], v[130:131], s[28:29]
	;; [unrolled: 1-line block ×3, first 2 shown]
	v_fma_f64 v[76:77], v[116:117], s[8:9], v[76:77]
	v_fma_f64 v[238:239], v[122:123], s[50:51], v[86:87]
	v_add_f64 v[88:89], v[22:23], v[88:89]
	v_fma_f64 v[242:243], v[120:121], s[22:23], v[92:93]
	v_add_f64 v[94:95], v[20:21], v[94:95]
	v_fma_f64 v[248:249], v[128:129], s[36:37], v[236:237]
	v_fma_f64 v[250:251], v[126:127], s[34:35], v[240:241]
	s_mov_b32 s57, 0xbfe58eea
	s_mov_b32 s56, s48
	v_mul_f64 v[90:91], v[156:157], s[38:39]
	v_add_f64 v[88:89], v[238:239], v[88:89]
	v_mul_f64 v[238:239], v[138:139], s[48:49]
	v_add_f64 v[94:95], v[242:243], v[94:95]
	v_mul_f64 v[242:243], v[144:145], s[44:45]
	v_fma_f64 v[252:253], v[134:135], s[56:57], v[234:235]
	v_fma_f64 v[78:79], v[114:115], s[6:7], -v[78:79]
	v_fma_f64 v[86:87], v[122:123], s[40:41], v[86:87]
	v_add_f64 v[76:77], v[22:23], v[76:77]
	v_add_f64 v[88:89], v[248:249], v[88:89]
	v_fma_f64 v[248:249], v[132:133], s[42:43], v[238:239]
	v_add_f64 v[94:95], v[250:251], v[94:95]
	s_mov_b32 s59, 0x3feca52d
	s_mov_b32 s58, s24
	v_mul_f64 v[84:85], v[160:161], s[26:27]
	v_mul_f64 v[250:251], v[158:159], s[58:59]
	v_fma_f64 v[254:255], v[142:143], s[46:47], v[90:91]
	v_add_f64 v[88:89], v[252:253], v[88:89]
	v_fma_f64 v[252:253], v[140:141], s[38:39], v[242:243]
	v_add_f64 v[94:95], v[248:249], v[94:95]
	v_fma_f64 v[92:93], v[120:121], s[22:23], -v[92:93]
	v_add_f64 v[78:79], v[20:21], v[78:79]
	v_fma_f64 v[236:237], v[128:129], s[28:29], v[236:237]
	v_add_f64 v[76:77], v[86:87], v[76:77]
	v_mul_f64 v[82:83], v[172:173], s[20:21]
	v_mul_f64 v[246:247], v[170:171], s[16:17]
	v_fma_f64 v[248:249], v[150:151], s[24:25], v[84:85]
	v_add_f64 v[88:89], v[254:255], v[88:89]
	v_fma_f64 v[86:87], v[148:149], s[26:27], v[250:251]
	v_add_f64 v[94:95], v[252:253], v[94:95]
	v_fma_f64 v[240:241], v[126:127], s[34:35], -v[240:241]
	v_add_f64 v[78:79], v[92:93], v[78:79]
	v_fma_f64 v[234:235], v[134:135], s[48:49], v[234:235]
	v_add_f64 v[76:77], v[236:237], v[76:77]
	;; [unrolled: 10-line block ×3, first 2 shown]
	v_fma_f64 v[238:239], v[166:167], s[2:3], v[80:81]
	v_add_f64 v[88:89], v[92:93], v[88:89]
	v_fma_f64 v[92:93], v[168:169], s[14:15], v[244:245]
	v_add_f64 v[86:87], v[236:237], v[86:87]
	v_fma_f64 v[234:235], v[140:141], s[38:39], -v[242:243]
	v_add_f64 v[94:95], v[94:95], v[78:79]
	v_fma_f64 v[84:85], v[150:151], s[58:59], v[84:85]
	v_mul_f64 v[236:237], v[152:153], s[34:35]
	v_add_f64 v[90:91], v[90:91], v[76:77]
	v_add_f64 v[78:79], v[238:239], v[88:89]
	v_fma_f64 v[82:83], v[164:165], s[16:17], v[82:83]
	v_add_f64 v[76:77], v[92:93], v[86:87]
	v_fma_f64 v[86:87], v[148:149], s[26:27], -v[250:251]
	v_add_f64 v[88:89], v[234:235], v[94:95]
	v_mul_f64 v[92:93], v[154:155], s[26:27]
	v_fma_f64 v[94:95], v[116:117], s[36:37], v[236:237]
	v_add_f64 v[84:85], v[84:85], v[90:91]
	v_mul_f64 v[90:91], v[118:119], s[28:29]
	v_fma_f64 v[234:235], v[162:163], s[20:21], -v[246:247]
	v_fma_f64 v[80:81], v[166:167], s[52:53], v[80:81]
	v_fma_f64 v[242:243], v[168:169], s[14:15], -v[244:245]
	v_add_f64 v[86:87], v[86:87], v[88:89]
	v_mul_f64 v[88:89], v[136:137], s[14:15]
	v_fma_f64 v[238:239], v[122:123], s[24:25], v[92:93]
	v_add_f64 v[94:95], v[22:23], v[94:95]
	v_add_f64 v[82:83], v[82:83], v[84:85]
	v_mul_f64 v[84:85], v[124:125], s[58:59]
	v_fma_f64 v[240:241], v[114:115], s[34:35], v[90:91]
	v_mul_f64 v[250:251], v[160:161], s[6:7]
	v_add_f64 v[86:87], v[234:235], v[86:87]
	v_mul_f64 v[234:235], v[146:147], s[38:39]
	v_fma_f64 v[244:245], v[128:129], s[52:53], v[88:89]
	v_add_f64 v[94:95], v[238:239], v[94:95]
	v_mul_f64 v[238:239], v[130:131], s[2:3]
	v_fma_f64 v[246:247], v[120:121], s[26:27], v[84:85]
	v_add_f64 v[240:241], v[20:21], v[240:241]
	v_add_f64 v[82:83], v[80:81], v[82:83]
	;; [unrolled: 1-line block ×3, first 2 shown]
	v_mul_f64 v[86:87], v[156:157], s[22:23]
	v_fma_f64 v[242:243], v[134:135], s[44:45], v[234:235]
	v_add_f64 v[94:95], v[244:245], v[94:95]
	v_mul_f64 v[244:245], v[138:139], s[46:47]
	v_fma_f64 v[248:249], v[126:127], s[14:15], v[238:239]
	v_add_f64 v[240:241], v[246:247], v[240:241]
	v_fma_f64 v[236:237], v[116:117], s[28:29], v[236:237]
	buffer_store_dword v76, off, s[60:63], 0 ; 4-byte Folded Spill
	s_nop 0
	buffer_store_dword v77, off, s[60:63], 0 offset:4 ; 4-byte Folded Spill
	buffer_store_dword v78, off, s[60:63], 0 offset:8 ; 4-byte Folded Spill
	;; [unrolled: 1-line block ×3, first 2 shown]
	v_fma_f64 v[252:253], v[142:143], s[40:41], v[86:87]
	v_mov_b32_e32 v76, v96
	v_add_f64 v[94:95], v[242:243], v[94:95]
	v_fma_f64 v[254:255], v[132:133], s[38:39], v[244:245]
	v_mul_f64 v[242:243], v[172:173], s[42:43]
	v_add_f64 v[240:241], v[248:249], v[240:241]
	v_mul_f64 v[248:249], v[144:145], s[50:51]
	v_fma_f64 v[92:93], v[122:123], s[58:59], v[92:93]
	v_add_f64 v[236:237], v[22:23], v[236:237]
	v_mov_b32_e32 v77, v97
	v_fma_f64 v[96:97], v[150:151], s[54:55], v[250:251]
	v_add_f64 v[94:95], v[252:253], v[94:95]
	v_fma_f64 v[90:91], v[114:115], s[34:35], -v[90:91]
	v_add_f64 v[240:241], v[254:255], v[240:241]
	v_fma_f64 v[254:255], v[140:141], s[22:23], v[248:249]
	v_fma_f64 v[88:89], v[128:129], s[2:3], v[88:89]
	v_add_f64 v[92:93], v[92:93], v[236:237]
	v_fma_f64 v[236:237], v[164:165], s[56:57], v[242:243]
	v_fma_f64 v[84:85], v[120:121], s[26:27], -v[84:85]
	v_add_f64 v[94:95], v[96:97], v[94:95]
	v_add_f64 v[90:91], v[20:21], v[90:91]
	v_mul_f64 v[252:253], v[158:159], s[8:9]
	v_add_f64 v[240:241], v[254:255], v[240:241]
	v_mul_f64 v[254:255], v[152:153], s[38:39]
	v_add_f64 v[88:89], v[88:89], v[92:93]
	v_fma_f64 v[234:235], v[134:135], s[46:47], v[234:235]
	v_fma_f64 v[238:239], v[126:127], s[14:15], -v[238:239]
	v_mul_f64 v[92:93], v[170:171], s[48:49]
	v_add_f64 v[84:85], v[84:85], v[90:91]
	v_add_f64 v[90:91], v[236:237], v[94:95]
	v_mul_f64 v[236:237], v[154:155], s[20:21]
	v_fma_f64 v[94:95], v[116:117], s[46:47], v[254:255]
	v_fma_f64 v[96:97], v[148:149], s[6:7], v[252:253]
	v_add_f64 v[88:89], v[234:235], v[88:89]
	v_fma_f64 v[234:235], v[132:133], s[38:39], -v[244:245]
	v_mul_f64 v[246:247], v[176:177], s[20:21]
	v_add_f64 v[84:85], v[238:239], v[84:85]
	v_mul_f64 v[238:239], v[136:137], s[22:23]
	v_fma_f64 v[244:245], v[122:123], s[16:17], v[236:237]
	v_add_f64 v[94:95], v[22:23], v[94:95]
	v_add_f64 v[96:97], v[96:97], v[240:241]
	v_fma_f64 v[240:241], v[162:163], s[42:43], v[92:93]
	v_fma_f64 v[86:87], v[142:143], s[50:51], v[86:87]
	v_fma_f64 v[248:249], v[140:141], s[22:23], -v[248:249]
	v_add_f64 v[84:85], v[234:235], v[84:85]
	v_fma_f64 v[234:235], v[128:129], s[40:41], v[238:239]
	v_fma_f64 v[250:251], v[150:151], s[8:9], v[250:251]
	v_add_f64 v[94:95], v[244:245], v[94:95]
	v_mul_f64 v[244:245], v[146:147], s[34:35]
	v_add_f64 v[96:97], v[240:241], v[96:97]
	v_fma_f64 v[240:241], v[166:167], s[18:19], v[246:247]
	v_add_f64 v[88:89], v[86:87], v[88:89]
	v_mul_f64 v[86:87], v[174:175], s[16:17]
	v_fma_f64 v[252:253], v[148:149], s[6:7], -v[252:253]
	v_add_f64 v[84:85], v[248:249], v[84:85]
	v_mul_f64 v[104:105], v[156:157], s[14:15]
	v_add_f64 v[94:95], v[234:235], v[94:95]
	v_fma_f64 v[234:235], v[134:135], s[36:37], v[244:245]
	v_add_f64 v[248:249], v[240:241], v[90:91]
	v_fma_f64 v[90:91], v[164:165], s[48:49], v[242:243]
	;; [unrolled: 2-line block ×3, first 2 shown]
	v_fma_f64 v[92:93], v[162:163], s[42:43], -v[92:93]
	v_add_f64 v[84:85], v[252:253], v[84:85]
	v_fma_f64 v[242:243], v[142:143], s[2:3], v[104:105]
	v_add_f64 v[94:95], v[234:235], v[94:95]
	v_mul_f64 v[234:235], v[160:161], s[42:43]
	v_mul_f64 v[252:253], v[118:119], s[44:45]
	v_fma_f64 v[250:251], v[166:167], s[16:17], v[246:247]
	v_add_f64 v[88:89], v[90:91], v[88:89]
	v_fma_f64 v[86:87], v[168:169], s[20:21], -v[86:87]
	v_add_f64 v[84:85], v[92:93], v[84:85]
	v_mul_f64 v[100:101], v[172:173], s[6:7]
	v_add_f64 v[92:93], v[242:243], v[94:95]
	v_fma_f64 v[94:95], v[150:151], s[48:49], v[234:235]
	v_add_f64 v[246:247], v[240:241], v[96:97]
	v_mul_f64 v[96:97], v[124:125], s[18:19]
	v_fma_f64 v[240:241], v[114:115], s[38:39], v[252:253]
	v_add_f64 v[90:91], v[250:251], v[88:89]
	v_add_f64 v[88:89], v[86:87], v[84:85]
	v_fma_f64 v[84:85], v[164:165], s[54:55], v[100:101]
	v_mul_f64 v[242:243], v[130:131], s[50:51]
	v_add_f64 v[86:87], v[94:95], v[92:93]
	v_mul_f64 v[250:251], v[144:145], s[52:53]
	v_fma_f64 v[92:93], v[120:121], s[20:21], v[96:97]
	v_add_f64 v[94:95], v[20:21], v[240:241]
	v_mul_f64 v[240:241], v[138:139], s[28:29]
	v_mul_f64 v[106:107], v[158:159], s[56:57]
	;; [unrolled: 1-line block ×3, first 2 shown]
	v_mov_b32_e32 v78, v98
	v_add_f64 v[84:85], v[84:85], v[86:87]
	v_fma_f64 v[86:87], v[126:127], s[22:23], v[242:243]
	v_mov_b32_e32 v79, v99
	v_add_f64 v[92:93], v[92:93], v[94:95]
	v_mul_f64 v[98:99], v[176:177], s[26:27]
	v_fma_f64 v[236:237], v[122:123], s[18:19], v[236:237]
	v_fma_f64 v[104:105], v[142:143], s[52:53], v[104:105]
	;; [unrolled: 1-line block ×3, first 2 shown]
	v_fma_f64 v[96:97], v[120:121], s[20:21], -v[96:97]
	v_fma_f64 v[100:101], v[164:165], s[8:9], v[100:101]
	v_add_f64 v[18:19], v[22:23], v[18:19]
	v_add_f64 v[86:87], v[86:87], v[92:93]
	v_fma_f64 v[92:93], v[132:133], s[34:35], v[240:241]
	v_add_f64 v[16:17], v[20:21], v[16:17]
	v_add_f64 v[18:19], v[18:19], v[34:35]
	v_mul_f64 v[34:35], v[146:147], s[14:15]
	v_add_f64 v[86:87], v[92:93], v[86:87]
	v_fma_f64 v[92:93], v[140:141], s[14:15], v[250:251]
	v_add_f64 v[16:17], v[16:17], v[32:33]
	v_add_f64 v[18:19], v[18:19], v[30:31]
	v_mul_f64 v[30:31], v[156:157], s[20:21]
	v_add_f64 v[86:87], v[92:93], v[86:87]
	v_fma_f64 v[92:93], v[148:149], s[42:43], v[106:107]
	v_fma_f64 v[106:107], v[148:149], s[42:43], -v[106:107]
	v_add_f64 v[16:17], v[16:17], v[28:29]
	v_add_f64 v[18:19], v[18:19], v[46:47]
	v_fma_f64 v[46:47], v[142:143], s[18:19], v[30:31]
	v_fma_f64 v[30:31], v[142:143], s[16:17], v[30:31]
	v_add_f64 v[86:87], v[92:93], v[86:87]
	v_fma_f64 v[92:93], v[162:163], s[6:7], v[178:179]
	v_add_f64 v[16:17], v[16:17], v[44:45]
	v_mul_f64 v[44:45], v[160:161], s[38:39]
	v_add_f64 v[18:19], v[18:19], v[50:51]
	v_mul_f64 v[50:51], v[172:173], s[34:35]
	v_add_f64 v[86:87], v[92:93], v[86:87]
	v_fma_f64 v[92:93], v[166:167], s[24:25], v[98:99]
	v_fma_f64 v[98:99], v[166:167], s[58:59], v[98:99]
	v_add_f64 v[48:49], v[16:17], v[48:49]
	v_add_f64 v[18:19], v[18:19], v[58:59]
	v_fma_f64 v[58:59], v[164:165], s[36:37], v[50:51]
	v_add_f64 v[94:95], v[92:93], v[84:85]
	v_mul_f64 v[84:85], v[174:175], s[58:59]
	v_add_f64 v[48:49], v[48:49], v[56:57]
	v_add_f64 v[18:19], v[18:19], v[66:67]
	v_mul_f64 v[66:67], v[158:159], s[44:45]
	v_mul_f64 v[56:57], v[176:177], s[6:7]
	v_fma_f64 v[92:93], v[168:169], s[26:27], v[84:85]
	v_fma_f64 v[84:85], v[168:169], s[26:27], -v[84:85]
	v_add_f64 v[48:49], v[48:49], v[64:65]
	v_mul_f64 v[64:65], v[118:119], s[50:51]
	v_add_f64 v[18:19], v[18:19], v[74:75]
	v_mul_f64 v[74:75], v[130:131], s[24:25]
	v_add_f64 v[92:93], v[92:93], v[86:87]
	v_fma_f64 v[86:87], v[116:117], s[44:45], v[254:255]
	v_add_f64 v[48:49], v[48:49], v[72:73]
	v_fma_f64 v[72:73], v[114:115], s[22:23], -v[64:65]
	v_fma_f64 v[64:65], v[114:115], s[22:23], v[64:65]
	v_add_f64 v[18:19], v[18:19], v[70:71]
	v_add_f64 v[86:87], v[22:23], v[86:87]
	v_add_f64 v[48:49], v[48:49], v[68:69]
	v_add_f64 v[68:69], v[20:21], v[72:73]
	v_fma_f64 v[72:73], v[126:127], s[26:27], -v[74:75]
	v_add_f64 v[18:19], v[18:19], v[62:63]
	v_fma_f64 v[62:63], v[126:127], s[26:27], v[74:75]
	v_add_f64 v[86:87], v[236:237], v[86:87]
	v_fma_f64 v[236:237], v[128:129], s[50:51], v[238:239]
	v_fma_f64 v[238:239], v[132:133], s[34:35], -v[240:241]
	v_fma_f64 v[240:241], v[140:141], s[14:15], -v[250:251]
	v_add_f64 v[48:49], v[48:49], v[60:61]
	v_add_f64 v[18:19], v[18:19], v[54:55]
	;; [unrolled: 1-line block ×3, first 2 shown]
	v_fma_f64 v[236:237], v[134:135], s[28:29], v[244:245]
	v_add_f64 v[48:49], v[48:49], v[52:53]
	v_add_f64 v[18:19], v[18:19], v[42:43]
	;; [unrolled: 1-line block ×3, first 2 shown]
	v_fma_f64 v[236:237], v[126:127], s[22:23], -v[242:243]
	v_mul_f64 v[242:243], v[162:163], s[38:39]
	v_add_f64 v[40:41], v[48:49], v[40:41]
	v_add_f64 v[18:19], v[18:19], v[38:39]
	v_fma_f64 v[38:39], v[148:149], s[38:39], v[66:67]
	v_add_f64 v[86:87], v[104:105], v[86:87]
	v_fma_f64 v[104:105], v[114:115], s[38:39], -v[252:253]
	v_add_f64 v[190:191], v[242:243], -v[190:191]
	v_add_f64 v[36:37], v[40:41], v[36:37]
	v_add_f64 v[18:19], v[18:19], v[26:27]
	v_fma_f64 v[40:41], v[164:165], s[28:29], v[50:51]
	v_add_f64 v[86:87], v[234:235], v[86:87]
	v_mul_f64 v[234:235], v[136:137], s[42:43]
	v_add_f64 v[104:105], v[20:21], v[104:105]
	v_add_f64 v[24:25], v[36:37], v[24:25]
	;; [unrolled: 1-line block ×5, first 2 shown]
	v_mul_f64 v[234:235], v[114:115], s[20:21]
	v_add_f64 v[96:97], v[96:97], v[104:105]
	v_mul_f64 v[104:105], v[152:153], s[20:21]
	v_mul_f64 v[100:101], v[146:147], s[26:27]
	v_add_f64 v[18:19], v[24:25], v[12:13]
	v_add_f64 v[98:99], v[98:99], v[86:87]
	v_fma_f64 v[86:87], v[162:163], s[6:7], -v[178:179]
	v_add_f64 v[216:217], v[234:235], -v[216:217]
	v_mul_f64 v[234:235], v[154:155], s[6:7]
	v_add_f64 v[104:105], v[228:229], v[104:105]
	v_mul_f64 v[228:229], v[154:155], s[34:35]
	v_add_f64 v[96:97], v[236:237], v[96:97]
	v_add_f64 v[100:101], v[224:225], v[100:101]
	v_mul_f64 v[224:225], v[120:121], s[34:35]
	v_mul_f64 v[236:237], v[152:153], s[14:15]
	v_add_f64 v[216:217], v[20:21], v[216:217]
	v_add_f64 v[234:235], v[78:79], v[234:235]
	buffer_load_dword v78, off, s[60:63], 0 offset:40 ; 4-byte Folded Reload
	buffer_load_dword v79, off, s[60:63], 0 offset:44 ; 4-byte Folded Reload
	v_add_f64 v[226:227], v[226:227], v[228:229]
	v_add_f64 v[104:105], v[22:23], v[104:105]
	v_add_f64 v[96:97], v[238:239], v[96:97]
	v_mul_f64 v[238:239], v[156:157], s[6:7]
	v_add_f64 v[212:213], v[224:225], -v[212:213]
	v_mul_f64 v[224:225], v[136:137], s[20:21]
	v_mul_f64 v[228:229], v[114:115], s[14:15]
	v_add_f64 v[180:181], v[180:181], v[236:237]
	v_mul_f64 v[236:237], v[156:157], s[26:27]
	v_add_f64 v[104:105], v[226:227], v[104:105]
	v_add_f64 v[96:97], v[240:241], v[96:97]
	v_mul_f64 v[240:241], v[160:161], s[14:15]
	v_add_f64 v[218:219], v[218:219], v[238:239]
	v_add_f64 v[102:103], v[102:103], v[224:225]
	v_mul_f64 v[224:225], v[172:173], s[22:23]
	v_mul_f64 v[226:227], v[120:121], s[6:7]
	;; [unrolled: 1-line block ×3, first 2 shown]
	v_add_f64 v[104:105], v[222:223], v[104:105]
	v_add_f64 v[96:97], v[106:107], v[96:97]
	;; [unrolled: 1-line block ×3, first 2 shown]
	v_mul_f64 v[240:241], v[132:133], s[26:27]
	v_add_f64 v[212:213], v[212:213], v[216:217]
	v_add_f64 v[106:107], v[202:203], v[224:225]
	;; [unrolled: 1-line block ×3, first 2 shown]
	v_add_f64 v[210:211], v[238:239], -v[210:211]
	v_add_f64 v[100:101], v[100:101], v[104:105]
	v_add_f64 v[86:87], v[86:87], v[96:97]
	v_mul_f64 v[238:239], v[146:147], s[22:23]
	v_add_f64 v[208:209], v[240:241], -v[208:209]
	v_mul_f64 v[240:241], v[140:141], s[6:7]
	v_mul_f64 v[216:217], v[148:149], s[14:15]
	v_add_f64 v[180:181], v[234:235], v[180:181]
	v_add_f64 v[210:211], v[210:211], v[212:213]
	;; [unrolled: 1-line block ×5, first 2 shown]
	v_mul_f64 v[238:239], v[168:169], s[38:39]
	v_add_f64 v[206:207], v[240:241], -v[206:207]
	v_add_f64 v[214:215], v[216:217], -v[214:215]
	v_add_f64 v[102:103], v[102:103], v[180:181]
	v_add_f64 v[208:209], v[208:209], v[210:211]
	;; [unrolled: 1-line block ×3, first 2 shown]
	v_mul_f64 v[210:211], v[162:163], s[22:23]
	v_mul_f64 v[216:217], v[160:161], s[34:35]
	;; [unrolled: 1-line block ×3, first 2 shown]
	v_add_f64 v[178:179], v[186:187], v[236:237]
	v_mul_f64 v[222:223], v[126:127], s[20:21]
	v_add_f64 v[102:103], v[184:185], v[102:103]
	v_add_f64 v[206:207], v[206:207], v[208:209]
	v_add_f64 v[100:101], v[106:107], v[100:101]
	v_add_f64 v[184:185], v[210:211], -v[200:201]
	v_add_f64 v[188:189], v[188:189], v[216:217]
	v_add_f64 v[180:181], v[204:205], v[180:181]
	v_mul_f64 v[240:241], v[172:173], s[38:39]
	v_mul_f64 v[86:87], v[152:153], s[26:27]
	v_add_f64 v[102:103], v[178:179], v[102:103]
	v_add_f64 v[186:187], v[214:215], v[206:207]
	v_add_f64 v[178:179], v[238:239], -v[198:199]
	v_mul_f64 v[208:209], v[176:177], s[42:43]
	v_mul_f64 v[104:105], v[132:133], s[22:23]
	;; [unrolled: 1-line block ×5, first 2 shown]
	v_add_f64 v[188:189], v[188:189], v[102:103]
	v_add_f64 v[184:185], v[184:185], v[186:187]
	;; [unrolled: 1-line block ×4, first 2 shown]
	v_mul_f64 v[180:181], v[154:155], s[38:39]
	v_mul_f64 v[194:195], v[136:137], s[6:7]
	;; [unrolled: 1-line block ×5, first 2 shown]
	v_add_f64 v[100:101], v[178:179], v[184:185]
	v_fma_f64 v[184:185], v[116:117], s[58:59], v[86:87]
	v_add_f64 v[186:187], v[186:187], v[188:189]
	v_mul_f64 v[188:189], v[118:119], s[24:25]
	v_fma_f64 v[204:205], v[128:129], s[8:9], v[194:195]
	v_fma_f64 v[86:87], v[116:117], s[24:25], v[86:87]
	;; [unrolled: 1-line block ×3, first 2 shown]
	s_waitcnt vmcnt(0)
	v_add_f64 v[106:107], v[228:229], -v[78:79]
	buffer_load_dword v78, off, s[60:63], 0 offset:32 ; 4-byte Folded Reload
	buffer_load_dword v79, off, s[60:63], 0 offset:36 ; 4-byte Folded Reload
	v_add_f64 v[184:185], v[22:23], v[184:185]
	v_fma_f64 v[210:211], v[142:143], s[56:57], v[206:207]
	v_fma_f64 v[200:201], v[114:115], s[26:27], v[188:189]
	v_fma_f64 v[188:189], v[114:115], s[26:27], -v[188:189]
	v_add_f64 v[86:87], v[22:23], v[86:87]
	v_add_f64 v[18:19], v[18:19], v[8:9]
	;; [unrolled: 1-line block ×3, first 2 shown]
	v_mul_u32_u24_e32 v8, 0x110, v110
	v_add3_u32 v8, 0, v8, v233
	v_add_f64 v[200:201], v[20:21], v[200:201]
	v_add_f64 v[188:189], v[20:21], v[188:189]
	s_waitcnt vmcnt(0)
	v_add_f64 v[84:85], v[226:227], -v[78:79]
	buffer_load_dword v78, off, s[60:63], 0 offset:24 ; 4-byte Folded Reload
	buffer_load_dword v79, off, s[60:63], 0 offset:28 ; 4-byte Folded Reload
	v_add_f64 v[84:85], v[84:85], v[106:107]
	v_add_f64 v[106:107], v[196:197], v[208:209]
	v_fma_f64 v[196:197], v[122:123], s[46:47], v[180:181]
	v_fma_f64 v[208:209], v[134:135], s[16:17], v[202:203]
	;; [unrolled: 1-line block ×4, first 2 shown]
	v_add_f64 v[184:185], v[196:197], v[184:185]
	v_fma_f64 v[196:197], v[120:121], s[38:39], v[198:199]
	v_add_f64 v[86:87], v[180:181], v[86:87]
	v_fma_f64 v[198:199], v[120:121], s[38:39], -v[198:199]
	v_add_f64 v[184:185], v[204:205], v[184:185]
	v_add_f64 v[196:197], v[196:197], v[200:201]
	v_mul_f64 v[200:201], v[160:161], s[22:23]
	v_add_f64 v[86:87], v[194:195], v[86:87]
	v_add_f64 v[188:189], v[198:199], v[188:189]
	v_mul_f64 v[198:199], v[146:147], s[6:7]
	v_add_f64 v[184:185], v[208:209], v[184:185]
	v_add_f64 v[86:87], v[202:203], v[86:87]
	;; [unrolled: 1-line block ×3, first 2 shown]
	v_mul_f64 v[210:211], v[158:159], s[50:51]
	v_fma_f64 v[180:181], v[148:149], s[22:23], v[210:211]
	s_waitcnt vmcnt(0)
	v_add_f64 v[178:179], v[222:223], -v[78:79]
	buffer_load_dword v78, off, s[60:63], 0 offset:16 ; 4-byte Folded Reload
	buffer_load_dword v79, off, s[60:63], 0 offset:20 ; 4-byte Folded Reload
	v_mul_f64 v[222:223], v[156:157], s[34:35]
	v_add_f64 v[84:85], v[178:179], v[84:85]
	v_add_f64 v[178:179], v[234:235], -v[192:193]
	v_add_f64 v[192:193], v[218:219], -v[76:77]
	v_mul_f64 v[234:235], v[174:175], s[40:41]
	s_waitcnt vmcnt(0)
	v_add_f64 v[104:105], v[104:105], -v[78:79]
	v_add_f64 v[84:85], v[104:105], v[84:85]
	v_add_f64 v[104:105], v[212:213], -v[182:183]
	v_mul_f64 v[182:183], v[130:131], s[54:55]
	v_fma_f64 v[212:213], v[150:151], s[40:41], v[200:201]
	v_add_f64 v[84:85], v[192:193], v[84:85]
	v_mul_f64 v[192:193], v[138:139], s[18:19]
	v_fma_f64 v[204:205], v[126:127], s[6:7], v[182:183]
	v_add_f64 v[184:185], v[212:213], v[184:185]
	v_mul_f64 v[212:213], v[170:171], s[2:3]
	v_fma_f64 v[182:183], v[126:127], s[6:7], -v[182:183]
	v_add_f64 v[84:85], v[104:105], v[84:85]
	v_mul_f64 v[104:105], v[144:145], s[48:49]
	v_fma_f64 v[208:209], v[132:133], s[20:21], v[192:193]
	v_add_f64 v[196:197], v[204:205], v[196:197]
	v_mul_f64 v[204:205], v[172:173], s[14:15]
	v_fma_f64 v[194:195], v[162:163], s[14:15], v[212:213]
	v_fma_f64 v[192:193], v[132:133], s[20:21], -v[192:193]
	v_add_f64 v[182:183], v[182:183], v[188:189]
	v_add_f64 v[84:85], v[190:191], v[84:85]
	v_fma_f64 v[214:215], v[140:141], s[42:43], v[104:105]
	v_fma_f64 v[188:189], v[134:135], s[54:55], v[198:199]
	v_add_f64 v[196:197], v[208:209], v[196:197]
	v_mul_f64 v[208:209], v[176:177], s[34:35]
	v_fma_f64 v[216:217], v[164:165], s[52:53], v[204:205]
	v_fma_f64 v[104:105], v[140:141], s[42:43], -v[104:105]
	v_add_f64 v[182:183], v[192:193], v[182:183]
	v_add_f64 v[178:179], v[178:179], v[84:85]
	v_fma_f64 v[84:85], v[142:143], s[48:49], v[206:207]
	v_mul_f64 v[206:207], v[136:137], s[38:39]
	v_add_f64 v[196:197], v[214:215], v[196:197]
	v_fma_f64 v[190:191], v[166:167], s[36:37], v[208:209]
	v_add_f64 v[184:185], v[216:217], v[184:185]
	v_mul_f64 v[214:215], v[174:175], s[28:29]
	v_add_f64 v[104:105], v[104:105], v[182:183]
	v_mul_f64 v[192:193], v[160:161], s[20:21]
	v_add_f64 v[84:85], v[84:85], v[86:87]
	v_fma_f64 v[86:87], v[164:165], s[2:3], v[204:205]
	v_add_f64 v[196:197], v[180:181], v[196:197]
	v_add_f64 v[180:181], v[106:107], v[186:187]
	;; [unrolled: 1-line block ×3, first 2 shown]
	v_mul_f64 v[184:185], v[152:153], s[42:43]
	v_mul_f64 v[204:205], v[118:119], s[56:57]
	v_fma_f64 v[218:219], v[128:129], s[46:47], v[206:207]
	v_fma_f64 v[186:187], v[168:169], s[34:35], v[214:215]
	v_fma_f64 v[212:213], v[162:163], s[14:15], -v[212:213]
	v_add_f64 v[190:191], v[194:195], v[196:197]
	v_fma_f64 v[196:197], v[150:151], s[50:51], v[200:201]
	v_mul_f64 v[200:201], v[154:155], s[14:15]
	v_fma_f64 v[202:203], v[116:117], s[48:49], v[184:185]
	v_fma_f64 v[194:195], v[166:167], s[28:29], v[208:209]
	;; [unrolled: 1-line block ×5, first 2 shown]
	v_fma_f64 v[214:215], v[168:169], s[34:35], -v[214:215]
	v_add_f64 v[84:85], v[196:197], v[84:85]
	v_fma_f64 v[208:209], v[122:123], s[52:53], v[200:201]
	v_add_f64 v[202:203], v[22:23], v[202:203]
	v_mul_f64 v[196:197], v[124:125], s[2:3]
	v_add_f64 v[216:217], v[20:21], v[216:217]
	v_fma_f64 v[206:207], v[128:129], s[44:45], v[206:207]
	v_mul_f64 v[152:153], v[152:153], s[22:23]
	v_fma_f64 v[198:199], v[134:135], s[8:9], v[198:199]
	v_add_f64 v[84:85], v[86:87], v[84:85]
	v_mul_f64 v[154:155], v[154:155], s[42:43]
	v_add_f64 v[202:203], v[208:209], v[202:203]
	v_mul_f64 v[208:209], v[130:131], s[44:45]
	v_fma_f64 v[220:221], v[120:121], s[14:15], v[196:197]
	v_fma_f64 v[196:197], v[120:121], s[14:15], -v[196:197]
	v_mul_f64 v[124:125], v[124:125], s[56:57]
	v_mul_f64 v[136:137], v[136:137], s[26:27]
	v_add_f64 v[184:185], v[194:195], v[84:85]
	v_fma_f64 v[84:85], v[122:123], s[2:3], v[200:201]
	v_add_f64 v[202:203], v[218:219], v[202:203]
	v_mul_f64 v[218:219], v[138:139], s[8:9]
	v_fma_f64 v[224:225], v[126:127], s[38:39], v[208:209]
	v_add_f64 v[216:217], v[220:221], v[216:217]
	v_fma_f64 v[220:221], v[142:143], s[28:29], v[222:223]
	v_fma_f64 v[70:71], v[120:121], s[42:43], v[124:125]
	v_mul_f64 v[138:139], v[138:139], s[2:3]
	v_mul_f64 v[86:87], v[170:171], s[58:59]
	v_add_f64 v[188:189], v[188:189], v[202:203]
	v_fma_f64 v[202:203], v[148:149], s[22:23], -v[210:211]
	v_mul_f64 v[210:211], v[144:145], s[36:37]
	v_fma_f64 v[226:227], v[132:133], s[6:7], v[218:219]
	v_add_f64 v[216:217], v[224:225], v[216:217]
	v_mul_f64 v[224:225], v[172:173], s[26:27]
	v_fma_f64 v[146:147], v[128:129], s[58:59], v[136:137]
	v_mul_f64 v[118:119], v[144:145], s[16:17]
	v_add_f64 v[188:189], v[220:221], v[188:189]
	v_add_f64 v[104:105], v[202:203], v[104:105]
	v_fma_f64 v[228:229], v[140:141], s[34:35], v[210:211]
	v_mul_f64 v[202:203], v[176:177], s[22:23]
	v_add_f64 v[216:217], v[226:227], v[216:217]
	v_fma_f64 v[226:227], v[164:165], s[24:25], v[224:225]
	v_mul_f64 v[220:221], v[158:159], s[18:19]
	v_fma_f64 v[54:55], v[132:133], s[14:15], v[138:139]
	v_add_f64 v[182:183], v[182:183], v[188:189]
	v_add_f64 v[212:213], v[212:213], v[104:105]
	;; [unrolled: 1-line block ×5, first 2 shown]
	v_fma_f64 v[228:229], v[166:167], s[50:51], v[202:203]
	v_fma_f64 v[200:201], v[166:167], s[40:41], v[202:203]
	v_fma_f64 v[202:203], v[114:115], s[42:43], -v[204:205]
	v_add_f64 v[226:227], v[226:227], v[182:183]
	v_add_f64 v[182:183], v[214:215], v[212:213]
	v_fma_f64 v[212:213], v[116:117], s[40:41], v[152:153]
	v_add_f64 v[84:85], v[84:85], v[186:187]
	v_fma_f64 v[116:117], v[116:117], s[50:51], v[152:153]
	v_fma_f64 v[186:187], v[150:151], s[18:19], v[192:193]
	;; [unrolled: 1-line block ×3, first 2 shown]
	v_add_f64 v[202:203], v[20:21], v[202:203]
	v_fma_f64 v[114:115], v[122:123], s[56:57], v[154:155]
	v_add_f64 v[20:21], v[20:21], v[64:65]
	v_fma_f64 v[64:65], v[128:129], s[24:25], v[136:137]
	v_add_f64 v[84:85], v[206:207], v[84:85]
	v_fma_f64 v[206:207], v[126:127], s[38:39], -v[208:209]
	v_add_f64 v[208:209], v[22:23], v[212:213]
	v_add_f64 v[22:23], v[22:23], v[116:117]
	v_add_f64 v[196:197], v[196:197], v[202:203]
	v_fma_f64 v[116:117], v[120:121], s[42:43], -v[124:125]
	v_fma_f64 v[202:203], v[122:123], s[48:49], v[154:155]
	v_add_f64 v[20:21], v[70:71], v[20:21]
	v_add_f64 v[84:85], v[198:199], v[84:85]
	v_fma_f64 v[198:199], v[132:133], s[6:7], -v[218:219]
	v_fma_f64 v[156:157], v[148:149], s[20:21], -v[220:221]
	v_add_f64 v[22:23], v[114:115], v[22:23]
	v_add_f64 v[32:33], v[206:207], v[196:197]
	v_add_f64 v[60:61], v[116:117], v[68:69]
	v_add_f64 v[196:197], v[202:203], v[208:209]
	v_add_f64 v[20:21], v[62:63], v[20:21]
	v_add_f64 v[84:85], v[192:193], v[84:85]
	v_fma_f64 v[192:193], v[140:141], s[34:35], -v[210:211]
	v_fma_f64 v[238:239], v[162:163], s[26:27], v[86:87]
	v_add_f64 v[22:23], v[64:65], v[22:23]
	v_add_f64 v[28:29], v[198:199], v[32:33]
	v_fma_f64 v[32:33], v[134:135], s[52:53], v[34:35]
	v_fma_f64 v[34:35], v[134:135], s[2:3], v[34:35]
	v_fma_f64 v[64:65], v[132:133], s[14:15], -v[138:139]
	v_add_f64 v[52:53], v[72:73], v[60:61]
	v_fma_f64 v[204:205], v[164:165], s[58:59], v[224:225]
	v_add_f64 v[146:147], v[146:147], v[196:197]
	v_add_f64 v[84:85], v[186:187], v[84:85]
	;; [unrolled: 1-line block ×3, first 2 shown]
	v_fma_f64 v[86:87], v[162:163], s[26:27], -v[86:87]
	v_add_f64 v[22:23], v[34:35], v[22:23]
	v_fma_f64 v[34:35], v[140:141], s[20:21], -v[118:119]
	v_add_f64 v[42:43], v[64:65], v[52:53]
	v_fma_f64 v[48:49], v[140:141], s[20:21], v[118:119]
	v_add_f64 v[20:21], v[54:55], v[20:21]
	v_add_f64 v[32:33], v[32:33], v[146:147]
	;; [unrolled: 1-line block ×4, first 2 shown]
	v_fma_f64 v[146:147], v[150:151], s[46:47], v[44:45]
	v_fma_f64 v[44:45], v[150:151], s[44:45], v[44:45]
	v_add_f64 v[22:23], v[30:31], v[22:23]
	v_fma_f64 v[30:31], v[148:149], s[38:39], -v[66:67]
	v_add_f64 v[34:35], v[34:35], v[42:43]
	v_add_f64 v[20:21], v[48:49], v[20:21]
	;; [unrolled: 1-line block ×3, first 2 shown]
	v_mul_f64 v[86:87], v[170:171], s[28:29]
	v_add_f64 v[16:17], v[200:201], v[84:85]
	v_mul_f64 v[84:85], v[174:175], s[8:9]
	v_add_f64 v[22:23], v[44:45], v[22:23]
	v_add_f64 v[32:33], v[46:47], v[32:33]
	;; [unrolled: 1-line block ×4, first 2 shown]
	v_fma_f64 v[34:35], v[166:167], s[8:9], v[56:57]
	v_fma_f64 v[42:43], v[162:163], s[34:35], -v[86:87]
	v_fma_f64 v[30:31], v[162:163], s[34:35], v[86:87]
	v_fma_f64 v[36:37], v[168:169], s[6:7], -v[84:85]
	v_add_f64 v[22:23], v[40:41], v[22:23]
	v_fma_f64 v[46:47], v[168:169], s[22:23], -v[234:235]
	v_fma_f64 v[188:189], v[148:149], s[20:21], v[220:221]
	v_add_f64 v[32:33], v[146:147], v[32:33]
	v_fma_f64 v[190:191], v[168:169], s[22:23], v[234:235]
	v_add_f64 v[24:25], v[42:43], v[26:27]
	v_add_f64 v[30:31], v[30:31], v[20:21]
	;; [unrolled: 1-line block ×6, first 2 shown]
	v_fma_f64 v[26:27], v[166:167], s[54:55], v[56:57]
	v_add_f64 v[32:33], v[58:59], v[32:33]
	v_add_f64 v[10:11], v[36:37], v[24:25]
	ds_write_b128 v8, v[18:21]
	ds_write_b128 v8, v[10:13] offset:16
	ds_write_b128 v8, v[14:17] offset:32
	;; [unrolled: 1-line block ×8, first 2 shown]
	buffer_load_dword v9, off, s[60:63], 0  ; 4-byte Folded Reload
	buffer_load_dword v10, off, s[60:63], 0 offset:4 ; 4-byte Folded Reload
	buffer_load_dword v11, off, s[60:63], 0 offset:8 ; 4-byte Folded Reload
	;; [unrolled: 1-line block ×3, first 2 shown]
	v_add_f64 v[194:195], v[238:239], v[216:217]
	v_fma_f64 v[38:39], v[168:169], s[6:7], v[84:85]
	v_add_f64 v[188:189], v[228:229], v[226:227]
	v_add_f64 v[24:25], v[26:27], v[32:33]
	;; [unrolled: 1-line block ×4, first 2 shown]
	s_waitcnt vmcnt(0)
	ds_write_b128 v8, v[9:12] offset:144
	ds_write_b128 v8, v[246:249] offset:160
	;; [unrolled: 1-line block ×8, first 2 shown]
.LBB0_14:
	s_or_b64 exec, exec, s[30:31]
	s_waitcnt lgkmcnt(0)
	s_barrier
	ds_read_b128 v[12:15], v231
	ds_read_b128 v[8:11], v232 offset:544
	ds_read_b128 v[36:39], v232 offset:3536
	ds_read_b128 v[32:35], v232 offset:4080
	ds_read_b128 v[16:19], v232 offset:1088
	ds_read_b128 v[20:23], v232 offset:1632
	ds_read_b128 v[44:47], v232 offset:4624
	ds_read_b128 v[40:43], v232 offset:5168
	ds_read_b128 v[24:27], v232 offset:2176
	ds_read_b128 v[28:31], v232 offset:2720
	ds_read_b128 v[52:55], v232 offset:5712
	ds_read_b128 v[48:51], v232 offset:6256
	v_cmp_gt_u32_e32 vcc, 17, v110
	s_and_saveexec_b64 s[2:3], vcc
	s_cbranch_execz .LBB0_16
; %bb.15:
	ds_read_b128 v[0:3], v232 offset:3264
	ds_read_b128 v[4:7], v232 offset:6800
.LBB0_16:
	s_or_b64 exec, exec, s[2:3]
	v_subrev_u32_e32 v56, 17, v110
	v_cndmask_b32_e32 v81, v56, v110, vcc
	v_mov_b32_e32 v82, 0
	v_lshlrev_b64 v[56:57], 4, v[81:82]
	v_mov_b32_e32 v58, s13
	v_add_co_u32_e64 v65, s[2:3], s12, v56
	v_add_u16_e32 v56, 34, v110
	s_movk_i32 s6, 0xf1
	v_addc_co_u32_e64 v66, s[2:3], v58, v57, s[2:3]
	v_mul_lo_u16_sdwa v57, v56, s6 dst_sel:DWORD dst_unused:UNUSED_PAD src0_sel:BYTE_0 src1_sel:DWORD
	v_lshrrev_b16_e32 v82, 12, v57
	v_mul_lo_u16_e32 v57, 17, v82
	v_sub_u16_e32 v57, v56, v57
	v_mov_b32_e32 v56, 4
	v_lshlrev_b32_sdwa v83, v56, v57 dst_sel:DWORD dst_unused:UNUSED_PAD src0_sel:DWORD src1_sel:BYTE_0
	global_load_dwordx4 v[57:60], v[65:66], off
	global_load_dwordx4 v[61:64], v83, s[12:13]
	v_add_u16_e32 v65, 0x44, v110
	v_mul_lo_u16_sdwa v66, v65, s6 dst_sel:DWORD dst_unused:UNUSED_PAD src0_sel:BYTE_0 src1_sel:DWORD
	v_add_u16_e32 v73, 0x88, v110
	v_lshrrev_b16_e32 v84, 12, v66
	v_mul_lo_u16_sdwa v74, v73, s6 dst_sel:DWORD dst_unused:UNUSED_PAD src0_sel:BYTE_0 src1_sel:DWORD
	v_mul_lo_u16_e32 v66, 17, v84
	v_lshrrev_b16_e32 v93, 12, v74
	v_sub_u16_e32 v65, v65, v66
	v_mul_lo_u16_e32 v74, 17, v93
	v_lshlrev_b32_sdwa v85, v56, v65 dst_sel:DWORD dst_unused:UNUSED_PAD src0_sel:DWORD src1_sel:BYTE_0
	v_add_u16_e32 v65, 0x66, v110
	v_sub_u16_e32 v73, v73, v74
	v_mul_lo_u16_sdwa v66, v65, s6 dst_sel:DWORD dst_unused:UNUSED_PAD src0_sel:BYTE_0 src1_sel:DWORD
	v_lshlrev_b32_sdwa v94, v56, v73 dst_sel:DWORD dst_unused:UNUSED_PAD src0_sel:DWORD src1_sel:BYTE_0
	v_add_u16_e32 v73, 0xaa, v110
	v_lshrrev_b16_e32 v86, 12, v66
	v_mul_lo_u16_sdwa v74, v73, s6 dst_sel:DWORD dst_unused:UNUSED_PAD src0_sel:BYTE_0 src1_sel:DWORD
	v_mul_lo_u16_e32 v66, 17, v86
	v_lshrrev_b16_e32 v95, 12, v74
	v_sub_u16_e32 v65, v65, v66
	v_mul_lo_u16_e32 v74, 17, v95
	v_lshlrev_b32_sdwa v87, v56, v65 dst_sel:DWORD dst_unused:UNUSED_PAD src0_sel:DWORD src1_sel:BYTE_0
	global_load_dwordx4 v[65:68], v85, s[12:13]
	global_load_dwordx4 v[69:72], v87, s[12:13]
	v_sub_u16_e32 v77, v73, v74
	global_load_dwordx4 v[73:76], v94, s[12:13]
	v_lshlrev_b32_sdwa v96, v56, v77 dst_sel:DWORD dst_unused:UNUSED_PAD src0_sel:DWORD src1_sel:BYTE_0
	global_load_dwordx4 v[77:80], v96, s[12:13]
	v_mov_b32_e32 v88, 0x220
	v_cmp_lt_u32_e64 s[2:3], 16, v110
	v_cndmask_b32_e64 v88, 0, v88, s[2:3]
	s_movk_i32 s7, 0x220
	v_add_u32_e32 v88, 0, v88
	v_lshlrev_b32_e32 v81, 4, v81
	v_add3_u32 v97, v88, v81, v233
	v_mad_u32_u24 v81, v82, s7, 0
	v_mad_u32_u24 v82, v84, s7, 0
	v_add3_u32 v98, v81, v83, v233
	v_add3_u32 v99, v82, v85, v233
	v_mad_u32_u24 v84, v86, s7, 0
	v_add3_u32 v100, v84, v87, v233
	s_load_dwordx2 s[4:5], s[4:5], 0x0
	s_waitcnt vmcnt(0) lgkmcnt(0)
	s_barrier
	v_mul_f64 v[81:82], v[38:39], v[59:60]
	v_mul_f64 v[59:60], v[36:37], v[59:60]
	;; [unrolled: 1-line block ×4, first 2 shown]
	v_fma_f64 v[36:37], v[36:37], v[57:58], -v[81:82]
	v_fma_f64 v[38:39], v[38:39], v[57:58], v[59:60]
	v_fma_f64 v[57:58], v[32:33], v[61:62], -v[83:84]
	v_fma_f64 v[59:60], v[34:35], v[61:62], v[63:64]
	v_add_f64 v[32:33], v[12:13], -v[36:37]
	v_add_f64 v[34:35], v[14:15], -v[38:39]
	;; [unrolled: 1-line block ×4, first 2 shown]
	v_mul_f64 v[85:86], v[46:47], v[67:68]
	v_mul_f64 v[67:68], v[44:45], v[67:68]
	;; [unrolled: 1-line block ×8, first 2 shown]
	v_fma_f64 v[44:45], v[44:45], v[65:66], -v[85:86]
	v_fma_f64 v[46:47], v[46:47], v[65:66], v[67:68]
	v_fma_f64 v[61:62], v[40:41], v[69:70], -v[87:88]
	v_fma_f64 v[52:53], v[52:53], v[73:74], -v[89:90]
	v_fma_f64 v[54:55], v[54:55], v[73:74], v[75:76]
	v_fma_f64 v[65:66], v[48:49], v[77:78], -v[91:92]
	v_fma_f64 v[67:68], v[50:51], v[77:78], v[79:80]
	v_fma_f64 v[63:64], v[42:43], v[69:70], v[71:72]
	v_add_f64 v[40:41], v[16:17], -v[44:45]
	v_add_f64 v[42:43], v[18:19], -v[46:47]
	;; [unrolled: 1-line block ×8, first 2 shown]
	v_fma_f64 v[12:13], v[12:13], 2.0, -v[32:33]
	v_fma_f64 v[14:15], v[14:15], 2.0, -v[34:35]
	;; [unrolled: 1-line block ×12, first 2 shown]
	ds_write_b128 v97, v[32:35] offset:272
	ds_write_b128 v97, v[12:15]
	ds_write_b128 v98, v[36:39] offset:272
	ds_write_b128 v98, v[8:11]
	ds_write_b128 v99, v[16:19]
	ds_write_b128 v99, v[40:43] offset:272
	ds_write_b128 v100, v[20:23]
	ds_write_b128 v100, v[44:47] offset:272
	v_mad_u32_u24 v8, v93, s7, 0
	v_add3_u32 v8, v8, v94, v233
	ds_write_b128 v8, v[24:27]
	ds_write_b128 v8, v[48:51] offset:272
	v_mad_u32_u24 v8, v95, s7, 0
	v_add3_u32 v8, v8, v96, v233
	ds_write_b128 v8, v[28:31]
	ds_write_b128 v8, v[52:55] offset:272
	s_and_saveexec_b64 s[2:3], vcc
	s_cbranch_execz .LBB0_18
; %bb.17:
	v_add_u16_e32 v8, 0xcc, v110
	v_mul_lo_u16_sdwa v9, v8, s6 dst_sel:DWORD dst_unused:UNUSED_PAD src0_sel:BYTE_0 src1_sel:DWORD
	v_lshrrev_b16_e32 v9, 12, v9
	v_mul_lo_u16_e32 v9, 17, v9
	v_sub_u16_e32 v8, v8, v9
	v_lshlrev_b32_sdwa v14, v56, v8 dst_sel:DWORD dst_unused:UNUSED_PAD src0_sel:DWORD src1_sel:BYTE_0
	global_load_dwordx4 v[8:11], v14, s[12:13]
	s_waitcnt vmcnt(0)
	v_mul_f64 v[12:13], v[4:5], v[10:11]
	v_mul_f64 v[10:11], v[6:7], v[10:11]
	v_fma_f64 v[6:7], v[6:7], v[8:9], v[12:13]
	v_fma_f64 v[4:5], v[4:5], v[8:9], -v[10:11]
	v_add3_u32 v8, 0, v14, v233
	v_add_f64 v[6:7], v[2:3], -v[6:7]
	v_add_f64 v[4:5], v[0:1], -v[4:5]
	v_fma_f64 v[2:3], v[2:3], 2.0, -v[6:7]
	v_fma_f64 v[0:1], v[0:1], 2.0, -v[4:5]
	ds_write_b128 v8, v[0:3] offset:6528
	ds_write_b128 v8, v[4:7] offset:6800
.LBB0_18:
	s_or_b64 exec, exec, s[2:3]
	v_mul_u32_u24_e32 v0, 12, v110
	v_lshlrev_b32_e32 v48, 4, v0
	s_waitcnt lgkmcnt(0)
	s_barrier
	global_load_dwordx4 v[0:3], v48, s[12:13] offset:272
	global_load_dwordx4 v[4:7], v48, s[12:13] offset:288
	global_load_dwordx4 v[8:11], v48, s[12:13] offset:304
	global_load_dwordx4 v[12:15], v48, s[12:13] offset:320
	global_load_dwordx4 v[16:19], v48, s[12:13] offset:336
	global_load_dwordx4 v[20:23], v48, s[12:13] offset:352
	global_load_dwordx4 v[24:27], v48, s[12:13] offset:368
	global_load_dwordx4 v[28:31], v48, s[12:13] offset:384
	global_load_dwordx4 v[32:35], v48, s[12:13] offset:400
	global_load_dwordx4 v[36:39], v48, s[12:13] offset:416
	global_load_dwordx4 v[40:43], v48, s[12:13] offset:432
	global_load_dwordx4 v[44:47], v48, s[12:13] offset:448
	ds_read_b128 v[48:51], v231
	ds_read_b128 v[52:55], v232 offset:544
	ds_read_b128 v[56:59], v232 offset:1088
	;; [unrolled: 1-line block ×12, first 2 shown]
	s_mov_b32 s26, 0x42a4c3d2
	s_mov_b32 s34, 0x66966769
	s_mov_b32 s16, 0x2ef20147
	s_mov_b32 s22, 0x24c2f84
	s_mov_b32 s28, 0x4bc48dbf
	s_mov_b32 s19, 0xbfddbe06
	s_mov_b32 s18, 0x4267c47c
	s_mov_b32 s27, 0xbfea55e2
	s_mov_b32 s35, 0xbfefc445
	s_mov_b32 s17, 0xbfedeba7
	s_mov_b32 s23, 0xbfe5384d
	s_mov_b32 s29, 0xbfcea1e5
	s_mov_b32 s14, 0xe00740e9
	s_mov_b32 s6, 0x1ea71119
	s_mov_b32 s2, 0xebaa3ed8
	s_mov_b32 s8, 0xb2365da1
	s_mov_b32 s20, 0xd0032e0c
	s_mov_b32 s24, 0x93053d00
	s_mov_b32 s15, 0x3fec55a7
	s_mov_b32 s7, 0x3fe22d96
	s_mov_b32 s3, 0x3fbedb7d
	s_mov_b32 s9, 0xbfd6b1d8
	s_mov_b32 s21, 0xbfe7f3cc
	s_mov_b32 s25, 0xbfef11f4
	s_mov_b32 s37, 0x3fe5384d
	s_mov_b32 s36, s22
	s_mov_b32 s31, 0x3fefc445
	s_mov_b32 s30, s34
	s_mov_b32 s39, 0x3fedeba7
	s_mov_b32 s38, s16
	s_waitcnt vmcnt(0) lgkmcnt(0)
	s_barrier
	v_mul_f64 v[100:101], v[54:55], v[2:3]
	v_mul_f64 v[2:3], v[52:53], v[2:3]
	v_mul_f64 v[102:103], v[58:59], v[6:7]
	v_mul_f64 v[6:7], v[56:57], v[6:7]
	v_mul_f64 v[104:105], v[62:63], v[10:11]
	v_mul_f64 v[106:107], v[66:67], v[14:15]
	v_mul_f64 v[14:15], v[64:65], v[14:15]
	v_mul_f64 v[114:115], v[70:71], v[18:19]
	v_mul_f64 v[18:19], v[68:69], v[18:19]
	v_mul_f64 v[116:117], v[74:75], v[22:23]
	v_mul_f64 v[22:23], v[72:73], v[22:23]
	v_mul_f64 v[120:121], v[82:83], v[30:31]
	v_mul_f64 v[30:31], v[80:81], v[30:31]
	v_fma_f64 v[52:53], v[52:53], v[0:1], -v[100:101]
	v_fma_f64 v[0:1], v[54:55], v[0:1], v[2:3]
	v_mul_f64 v[10:11], v[60:61], v[10:11]
	v_mul_f64 v[118:119], v[78:79], v[26:27]
	;; [unrolled: 1-line block ×9, first 2 shown]
	v_fma_f64 v[2:3], v[56:57], v[4:5], -v[102:103]
	v_fma_f64 v[54:55], v[58:59], v[4:5], v[6:7]
	v_fma_f64 v[56:57], v[60:61], v[8:9], -v[104:105]
	v_fma_f64 v[60:61], v[64:65], v[12:13], -v[106:107]
	v_fma_f64 v[12:13], v[66:67], v[12:13], v[14:15]
	v_fma_f64 v[14:15], v[68:69], v[16:17], -v[114:115]
	v_fma_f64 v[16:17], v[70:71], v[16:17], v[18:19]
	v_fma_f64 v[4:5], v[72:73], v[20:21], -v[116:117]
	v_fma_f64 v[6:7], v[74:75], v[20:21], v[22:23]
	v_fma_f64 v[18:19], v[80:81], v[28:29], -v[120:121]
	v_fma_f64 v[20:21], v[82:83], v[28:29], v[30:31]
	v_add_f64 v[28:29], v[48:49], v[52:53]
	v_add_f64 v[30:31], v[50:51], v[0:1]
	v_mul_f64 v[42:43], v[92:93], v[42:43]
	v_mul_f64 v[46:47], v[96:97], v[46:47]
	v_fma_f64 v[58:59], v[62:63], v[8:9], v[10:11]
	v_fma_f64 v[8:9], v[76:77], v[24:25], -v[118:119]
	v_fma_f64 v[10:11], v[78:79], v[24:25], v[26:27]
	v_fma_f64 v[24:25], v[86:87], v[32:33], v[34:35]
	v_fma_f64 v[26:27], v[96:97], v[44:45], -v[128:129]
	v_fma_f64 v[34:35], v[88:89], v[36:37], -v[124:125]
	v_fma_f64 v[36:37], v[90:91], v[36:37], v[38:39]
	v_fma_f64 v[38:39], v[92:93], v[40:41], -v[126:127]
	v_add_f64 v[28:29], v[28:29], v[2:3]
	v_add_f64 v[30:31], v[30:31], v[54:55]
	v_fma_f64 v[22:23], v[84:85], v[32:33], -v[122:123]
	v_fma_f64 v[32:33], v[98:99], v[44:45], v[46:47]
	v_fma_f64 v[40:41], v[94:95], v[40:41], v[42:43]
	v_add_f64 v[42:43], v[52:53], v[26:27]
	v_add_f64 v[46:47], v[52:53], -v[26:27]
	v_add_f64 v[52:53], v[2:3], v[38:39]
	v_add_f64 v[64:65], v[2:3], -v[38:39]
	v_add_f64 v[2:3], v[28:29], v[56:57]
	v_add_f64 v[28:29], v[30:31], v[58:59]
	;; [unrolled: 1-line block ×3, first 2 shown]
	v_add_f64 v[0:1], v[0:1], -v[32:33]
	v_add_f64 v[62:63], v[54:55], v[40:41]
	v_add_f64 v[30:31], v[54:55], -v[40:41]
	v_mul_f64 v[66:67], v[46:47], s[18:19]
	v_mul_f64 v[70:71], v[46:47], s[26:27]
	v_add_f64 v[2:3], v[2:3], v[60:61]
	v_add_f64 v[28:29], v[28:29], v[12:13]
	v_mul_f64 v[74:75], v[46:47], s[34:35]
	v_mul_f64 v[54:55], v[0:1], s[18:19]
	;; [unrolled: 1-line block ×7, first 2 shown]
	v_add_f64 v[0:1], v[2:3], v[14:15]
	v_add_f64 v[2:3], v[28:29], v[16:17]
	v_mul_f64 v[78:79], v[46:47], s[16:17]
	v_mul_f64 v[82:83], v[46:47], s[22:23]
	;; [unrolled: 1-line block ×3, first 2 shown]
	v_fma_f64 v[88:89], v[42:43], s[14:15], -v[54:55]
	v_fma_f64 v[90:91], v[44:45], s[14:15], v[66:67]
	v_fma_f64 v[54:55], v[42:43], s[14:15], v[54:55]
	v_add_f64 v[0:1], v[0:1], v[4:5]
	v_add_f64 v[2:3], v[2:3], v[6:7]
	v_fma_f64 v[66:67], v[44:45], s[14:15], -v[66:67]
	v_fma_f64 v[92:93], v[42:43], s[6:7], -v[68:69]
	v_fma_f64 v[94:95], v[44:45], s[6:7], v[70:71]
	v_fma_f64 v[68:69], v[42:43], s[6:7], v[68:69]
	v_fma_f64 v[70:71], v[44:45], s[6:7], -v[70:71]
	v_fma_f64 v[96:97], v[42:43], s[2:3], -v[72:73]
	v_add_f64 v[0:1], v[0:1], v[8:9]
	v_add_f64 v[2:3], v[2:3], v[10:11]
	v_fma_f64 v[98:99], v[44:45], s[2:3], v[74:75]
	v_fma_f64 v[72:73], v[42:43], s[2:3], v[72:73]
	v_fma_f64 v[74:75], v[44:45], s[2:3], -v[74:75]
	v_fma_f64 v[100:101], v[42:43], s[8:9], -v[76:77]
	v_fma_f64 v[102:103], v[44:45], s[8:9], v[78:79]
	v_fma_f64 v[76:77], v[42:43], s[8:9], v[76:77]
	v_add_f64 v[0:1], v[0:1], v[18:19]
	v_add_f64 v[2:3], v[2:3], v[20:21]
	v_fma_f64 v[78:79], v[44:45], s[8:9], -v[78:79]
	v_fma_f64 v[104:105], v[42:43], s[20:21], -v[80:81]
	v_fma_f64 v[106:107], v[44:45], s[20:21], v[82:83]
	v_fma_f64 v[80:81], v[42:43], s[20:21], v[80:81]
	v_fma_f64 v[82:83], v[44:45], s[20:21], -v[82:83]
	v_fma_f64 v[114:115], v[42:43], s[24:25], -v[84:85]
	v_add_f64 v[0:1], v[0:1], v[22:23]
	v_add_f64 v[2:3], v[2:3], v[24:25]
	v_mul_f64 v[46:47], v[30:31], s[26:27]
	v_mul_f64 v[86:87], v[64:65], s[26:27]
	v_add_f64 v[88:89], v[48:49], v[88:89]
	v_add_f64 v[90:91], v[50:51], v[90:91]
	;; [unrolled: 1-line block ×22, first 2 shown]
	v_fma_f64 v[26:27], v[44:45], s[24:25], v[28:29]
	v_fma_f64 v[32:33], v[42:43], s[24:25], v[84:85]
	v_fma_f64 v[28:29], v[44:45], s[24:25], -v[28:29]
	v_add_f64 v[100:101], v[48:49], v[104:105]
	v_add_f64 v[102:103], v[50:51], v[106:107]
	;; [unrolled: 1-line block ×8, first 2 shown]
	v_mul_f64 v[48:49], v[30:31], s[16:17]
	v_mul_f64 v[50:51], v[64:65], s[16:17]
	v_fma_f64 v[80:81], v[52:53], s[6:7], -v[46:47]
	v_fma_f64 v[82:83], v[62:63], s[6:7], v[86:87]
	v_fma_f64 v[46:47], v[52:53], s[6:7], v[46:47]
	v_fma_f64 v[86:87], v[62:63], s[6:7], -v[86:87]
	s_mov_b32 s19, 0x3fddbe06
	v_fma_f64 v[104:105], v[52:53], s[8:9], -v[48:49]
	v_fma_f64 v[106:107], v[62:63], s[8:9], v[50:51]
	v_add_f64 v[80:81], v[80:81], v[88:89]
	v_add_f64 v[82:83], v[82:83], v[90:91]
	v_mul_f64 v[88:89], v[30:31], s[28:29]
	v_mul_f64 v[90:91], v[64:65], s[28:29]
	v_add_f64 v[46:47], v[46:47], v[54:55]
	v_add_f64 v[54:55], v[86:87], v[66:67]
	;; [unrolled: 1-line block ×4, first 2 shown]
	v_mul_f64 v[92:93], v[30:31], s[36:37]
	v_mul_f64 v[94:95], v[64:65], s[36:37]
	v_fma_f64 v[48:49], v[52:53], s[8:9], v[48:49]
	v_fma_f64 v[50:51], v[62:63], s[8:9], -v[50:51]
	v_fma_f64 v[114:115], v[52:53], s[24:25], -v[88:89]
	v_fma_f64 v[116:117], v[62:63], s[24:25], v[90:91]
	v_fma_f64 v[88:89], v[52:53], s[24:25], v[88:89]
	v_fma_f64 v[90:91], v[62:63], s[24:25], -v[90:91]
	v_fma_f64 v[104:105], v[52:53], s[20:21], -v[92:93]
	v_fma_f64 v[106:107], v[62:63], s[20:21], v[94:95]
	v_fma_f64 v[92:93], v[52:53], s[20:21], v[92:93]
	v_fma_f64 v[94:95], v[62:63], s[20:21], -v[94:95]
	v_add_f64 v[48:49], v[48:49], v[68:69]
	v_add_f64 v[50:51], v[50:51], v[70:71]
	;; [unrolled: 1-line block ×4, first 2 shown]
	v_mul_f64 v[96:97], v[30:31], s[30:31]
	v_mul_f64 v[98:99], v[64:65], s[30:31]
	v_add_f64 v[76:77], v[92:93], v[76:77]
	v_add_f64 v[78:79], v[94:95], v[78:79]
	v_add_f64 v[92:93], v[58:59], -v[36:37]
	v_add_f64 v[94:95], v[56:57], -v[34:35]
	v_add_f64 v[72:73], v[88:89], v[72:73]
	v_mul_f64 v[30:31], v[30:31], s[18:19]
	v_fma_f64 v[114:115], v[52:53], s[2:3], -v[96:97]
	v_fma_f64 v[88:89], v[62:63], s[2:3], v[98:99]
	v_mul_f64 v[64:65], v[64:65], s[18:19]
	v_add_f64 v[34:35], v[56:57], v[34:35]
	v_add_f64 v[36:37], v[58:59], v[36:37]
	v_mul_f64 v[56:57], v[92:93], s[34:35]
	v_mul_f64 v[58:59], v[94:95], s[34:35]
	v_add_f64 v[74:75], v[90:91], v[74:75]
	v_add_f64 v[90:91], v[114:115], v[100:101]
	;; [unrolled: 1-line block ×3, first 2 shown]
	v_fma_f64 v[96:97], v[52:53], s[2:3], v[96:97]
	v_fma_f64 v[98:99], v[62:63], s[2:3], -v[98:99]
	v_fma_f64 v[100:101], v[52:53], s[14:15], -v[30:31]
	v_fma_f64 v[102:103], v[62:63], s[14:15], v[64:65]
	v_fma_f64 v[30:31], v[52:53], s[14:15], v[30:31]
	v_fma_f64 v[52:53], v[62:63], s[14:15], -v[64:65]
	v_fma_f64 v[62:63], v[34:35], s[2:3], -v[56:57]
	v_fma_f64 v[64:65], v[36:37], s[2:3], v[58:59]
	v_fma_f64 v[56:57], v[34:35], s[2:3], v[56:57]
	v_fma_f64 v[58:59], v[36:37], s[2:3], -v[58:59]
	v_add_f64 v[42:43], v[96:97], v[42:43]
	v_add_f64 v[44:45], v[98:99], v[44:45]
	;; [unrolled: 1-line block ×6, first 2 shown]
	v_mul_f64 v[62:63], v[92:93], s[28:29]
	v_mul_f64 v[64:65], v[94:95], s[28:29]
	;; [unrolled: 1-line block ×4, first 2 shown]
	v_add_f64 v[46:47], v[56:57], v[46:47]
	v_add_f64 v[54:55], v[58:59], v[54:55]
	;; [unrolled: 1-line block ×4, first 2 shown]
	v_fma_f64 v[96:97], v[34:35], s[24:25], -v[62:63]
	v_fma_f64 v[98:99], v[36:37], s[24:25], v[64:65]
	v_fma_f64 v[62:63], v[34:35], s[24:25], v[62:63]
	v_fma_f64 v[64:65], v[36:37], s[24:25], -v[64:65]
	v_fma_f64 v[56:57], v[34:35], s[8:9], -v[80:81]
	v_fma_f64 v[58:59], v[36:37], s[8:9], v[82:83]
	v_add_f64 v[40:41], v[106:107], v[40:41]
	v_add_f64 v[26:27], v[102:103], v[26:27]
	;; [unrolled: 1-line block ×6, first 2 shown]
	v_mul_f64 v[62:63], v[92:93], s[18:19]
	v_mul_f64 v[64:65], v[94:95], s[18:19]
	v_add_f64 v[56:57], v[56:57], v[68:69]
	v_add_f64 v[58:59], v[58:59], v[70:71]
	v_fma_f64 v[68:69], v[34:35], s[8:9], v[80:81]
	v_fma_f64 v[70:71], v[36:37], s[8:9], -v[82:83]
	v_mul_f64 v[80:81], v[92:93], s[26:27]
	v_mul_f64 v[82:83], v[94:95], s[26:27]
	v_fma_f64 v[96:97], v[34:35], s[14:15], -v[62:63]
	v_fma_f64 v[98:99], v[36:37], s[14:15], v[64:65]
	v_fma_f64 v[62:63], v[34:35], s[14:15], v[62:63]
	v_fma_f64 v[64:65], v[36:37], s[14:15], -v[64:65]
	v_add_f64 v[68:69], v[68:69], v[72:73]
	v_add_f64 v[70:71], v[70:71], v[74:75]
	v_fma_f64 v[72:73], v[34:35], s[6:7], -v[80:81]
	v_fma_f64 v[74:75], v[36:37], s[6:7], v[82:83]
	v_fma_f64 v[80:81], v[34:35], s[6:7], v[80:81]
	v_fma_f64 v[82:83], v[36:37], s[6:7], -v[82:83]
	v_add_f64 v[62:63], v[62:63], v[76:77]
	v_add_f64 v[64:65], v[64:65], v[78:79]
	v_mul_f64 v[76:77], v[92:93], s[22:23]
	v_mul_f64 v[78:79], v[94:95], s[22:23]
	v_add_f64 v[72:73], v[72:73], v[90:91]
	v_add_f64 v[74:75], v[74:75], v[88:89]
	v_add_f64 v[88:89], v[12:13], -v[24:25]
	v_add_f64 v[90:91], v[60:61], -v[22:23]
	v_add_f64 v[22:23], v[60:61], v[22:23]
	v_add_f64 v[12:13], v[12:13], v[24:25]
	v_fma_f64 v[92:93], v[34:35], s[20:21], -v[76:77]
	v_fma_f64 v[94:95], v[36:37], s[20:21], v[78:79]
	v_fma_f64 v[34:35], v[34:35], s[20:21], v[76:77]
	v_fma_f64 v[36:37], v[36:37], s[20:21], -v[78:79]
	v_mul_f64 v[24:25], v[88:89], s[16:17]
	v_mul_f64 v[60:61], v[90:91], s[16:17]
	v_add_f64 v[42:43], v[80:81], v[42:43]
	v_add_f64 v[44:45], v[82:83], v[44:45]
	;; [unrolled: 1-line block ×6, first 2 shown]
	v_fma_f64 v[78:79], v[22:23], s[8:9], -v[24:25]
	v_fma_f64 v[80:81], v[12:13], s[8:9], v[60:61]
	v_mul_f64 v[34:35], v[88:89], s[36:37]
	v_mul_f64 v[36:37], v[90:91], s[36:37]
	v_fma_f64 v[24:25], v[22:23], s[8:9], v[24:25]
	v_fma_f64 v[60:61], v[12:13], s[8:9], -v[60:61]
	s_mov_b32 s37, 0x3fcea1e5
	s_mov_b32 s36, s28
	v_add_f64 v[32:33], v[78:79], v[32:33]
	v_add_f64 v[52:53], v[80:81], v[52:53]
	v_mul_f64 v[78:79], v[88:89], s[18:19]
	v_mul_f64 v[80:81], v[90:91], s[18:19]
	v_fma_f64 v[82:83], v[22:23], s[20:21], -v[34:35]
	v_fma_f64 v[84:85], v[12:13], s[20:21], v[36:37]
	v_add_f64 v[24:25], v[24:25], v[46:47]
	v_add_f64 v[46:47], v[60:61], v[54:55]
	v_fma_f64 v[34:35], v[22:23], s[20:21], v[34:35]
	v_fma_f64 v[36:37], v[12:13], s[20:21], -v[36:37]
	v_fma_f64 v[54:55], v[22:23], s[14:15], -v[78:79]
	v_fma_f64 v[60:61], v[12:13], s[14:15], v[80:81]
	v_add_f64 v[66:67], v[82:83], v[66:67]
	v_add_f64 v[82:83], v[84:85], v[86:87]
	v_mul_f64 v[84:85], v[88:89], s[34:35]
	v_mul_f64 v[86:87], v[90:91], s[34:35]
	v_add_f64 v[34:35], v[34:35], v[48:49]
	v_add_f64 v[36:37], v[36:37], v[50:51]
	;; [unrolled: 1-line block ×4, first 2 shown]
	v_fma_f64 v[54:55], v[22:23], s[14:15], v[78:79]
	v_mul_f64 v[78:79], v[88:89], s[36:37]
	v_fma_f64 v[58:59], v[22:23], s[2:3], -v[84:85]
	v_add_f64 v[40:41], v[98:99], v[40:41]
	v_fma_f64 v[56:57], v[12:13], s[14:15], -v[80:81]
	v_fma_f64 v[60:61], v[12:13], s[2:3], v[86:87]
	v_mul_f64 v[80:81], v[90:91], s[36:37]
	s_mov_b32 s35, 0x3fea55e2
	s_mov_b32 s34, s26
	v_fma_f64 v[84:85], v[22:23], s[2:3], v[84:85]
	v_add_f64 v[38:39], v[58:59], v[38:39]
	v_fma_f64 v[58:59], v[22:23], s[24:25], -v[78:79]
	v_fma_f64 v[86:87], v[12:13], s[2:3], -v[86:87]
	v_add_f64 v[40:41], v[60:61], v[40:41]
	v_fma_f64 v[60:61], v[12:13], s[24:25], v[80:81]
	v_add_f64 v[54:55], v[54:55], v[68:69]
	v_add_f64 v[56:57], v[56:57], v[70:71]
	v_mul_f64 v[68:69], v[88:89], s[34:35]
	v_mul_f64 v[70:71], v[90:91], s[34:35]
	v_add_f64 v[58:59], v[58:59], v[72:73]
	v_add_f64 v[72:73], v[16:17], -v[20:21]
	v_add_f64 v[62:63], v[84:85], v[62:63]
	v_add_f64 v[60:61], v[60:61], v[74:75]
	v_add_f64 v[74:75], v[14:15], -v[18:19]
	v_add_f64 v[64:65], v[86:87], v[64:65]
	v_fma_f64 v[78:79], v[22:23], s[24:25], v[78:79]
	v_fma_f64 v[80:81], v[12:13], s[24:25], -v[80:81]
	v_fma_f64 v[84:85], v[22:23], s[6:7], -v[68:69]
	v_fma_f64 v[86:87], v[12:13], s[6:7], v[70:71]
	v_add_f64 v[14:15], v[14:15], v[18:19]
	v_mul_f64 v[18:19], v[72:73], s[22:23]
	v_fma_f64 v[22:23], v[22:23], s[6:7], v[68:69]
	v_fma_f64 v[12:13], v[12:13], s[6:7], -v[70:71]
	v_add_f64 v[16:17], v[16:17], v[20:21]
	v_mul_f64 v[20:21], v[74:75], s[22:23]
	v_add_f64 v[68:69], v[84:85], v[76:77]
	v_add_f64 v[42:43], v[78:79], v[42:43]
	;; [unrolled: 1-line block ×3, first 2 shown]
	v_fma_f64 v[70:71], v[14:15], s[20:21], -v[18:19]
	v_add_f64 v[22:23], v[22:23], v[30:31]
	v_add_f64 v[12:13], v[12:13], v[28:29]
	v_mul_f64 v[28:29], v[72:73], s[30:31]
	v_mul_f64 v[30:31], v[74:75], s[30:31]
	v_fma_f64 v[76:77], v[16:17], s[20:21], v[20:21]
	v_fma_f64 v[18:19], v[14:15], s[20:21], v[18:19]
	v_fma_f64 v[20:21], v[16:17], s[20:21], -v[20:21]
	v_add_f64 v[32:33], v[70:71], v[32:33]
	v_mul_f64 v[70:71], v[72:73], s[26:27]
	v_add_f64 v[26:27], v[94:95], v[26:27]
	v_fma_f64 v[78:79], v[14:15], s[2:3], -v[28:29]
	v_fma_f64 v[80:81], v[16:17], s[2:3], v[30:31]
	v_add_f64 v[52:53], v[76:77], v[52:53]
	v_mul_f64 v[76:77], v[74:75], s[26:27]
	v_add_f64 v[18:19], v[18:19], v[24:25]
	v_fma_f64 v[24:25], v[14:15], s[2:3], v[28:29]
	v_fma_f64 v[28:29], v[16:17], s[2:3], -v[30:31]
	v_fma_f64 v[30:31], v[14:15], s[6:7], -v[70:71]
	v_add_f64 v[66:67], v[78:79], v[66:67]
	v_add_f64 v[78:79], v[80:81], v[82:83]
	v_mul_f64 v[80:81], v[72:73], s[36:37]
	v_add_f64 v[20:21], v[20:21], v[46:47]
	v_fma_f64 v[46:47], v[16:17], s[6:7], v[76:77]
	v_mul_f64 v[82:83], v[74:75], s[36:37]
	v_add_f64 v[28:29], v[28:29], v[36:37]
	v_add_f64 v[30:31], v[30:31], v[48:49]
	v_fma_f64 v[36:37], v[14:15], s[6:7], v[70:71]
	v_mul_f64 v[70:71], v[72:73], s[18:19]
	v_fma_f64 v[48:49], v[14:15], s[24:25], -v[80:81]
	v_add_f64 v[24:25], v[24:25], v[34:35]
	v_add_f64 v[34:35], v[46:47], v[50:51]
	v_fma_f64 v[46:47], v[16:17], s[6:7], -v[76:77]
	v_fma_f64 v[50:51], v[16:17], s[24:25], v[82:83]
	v_mul_f64 v[76:77], v[74:75], s[18:19]
	v_fma_f64 v[80:81], v[14:15], s[24:25], v[80:81]
	v_fma_f64 v[82:83], v[16:17], s[24:25], -v[82:83]
	v_add_f64 v[38:39], v[48:49], v[38:39]
	v_fma_f64 v[48:49], v[14:15], s[14:15], -v[70:71]
	v_add_f64 v[36:37], v[36:37], v[54:55]
	v_add_f64 v[46:47], v[46:47], v[56:57]
	;; [unrolled: 1-line block ×3, first 2 shown]
	v_fma_f64 v[50:51], v[16:17], s[14:15], v[76:77]
	v_add_f64 v[54:55], v[80:81], v[62:63]
	v_fma_f64 v[62:63], v[14:15], s[14:15], v[70:71]
	v_mul_f64 v[70:71], v[72:73], s[16:17]
	v_add_f64 v[48:49], v[48:49], v[58:59]
	v_add_f64 v[58:59], v[6:7], -v[10:11]
	v_add_f64 v[56:57], v[82:83], v[64:65]
	v_fma_f64 v[64:65], v[16:17], s[14:15], -v[76:77]
	v_add_f64 v[50:51], v[50:51], v[60:61]
	v_add_f64 v[60:61], v[4:5], -v[8:9]
	v_mul_f64 v[72:73], v[74:75], s[16:17]
	v_add_f64 v[74:75], v[4:5], v[8:9]
	v_add_f64 v[42:43], v[62:63], v[42:43]
	v_mul_f64 v[4:5], v[58:59], s[28:29]
	v_fma_f64 v[62:63], v[14:15], s[8:9], -v[70:71]
	v_add_f64 v[76:77], v[6:7], v[10:11]
	v_add_f64 v[26:27], v[86:87], v[26:27]
	v_mul_f64 v[6:7], v[60:61], s[28:29]
	v_add_f64 v[44:45], v[64:65], v[44:45]
	v_fma_f64 v[64:65], v[16:17], s[8:9], v[72:73]
	v_fma_f64 v[8:9], v[14:15], s[8:9], v[70:71]
	v_fma_f64 v[10:11], v[16:17], s[8:9], -v[72:73]
	v_mul_f64 v[16:17], v[58:59], s[18:19]
	v_fma_f64 v[14:15], v[74:75], s[24:25], -v[4:5]
	v_add_f64 v[62:63], v[62:63], v[68:69]
	v_fma_f64 v[68:69], v[76:77], s[24:25], v[6:7]
	v_add_f64 v[64:65], v[64:65], v[26:27]
	v_mul_f64 v[26:27], v[60:61], s[18:19]
	v_add_f64 v[70:71], v[8:9], v[22:23]
	v_add_f64 v[72:73], v[10:11], v[12:13]
	v_fma_f64 v[8:9], v[74:75], s[24:25], v[4:5]
	v_fma_f64 v[10:11], v[76:77], s[24:25], -v[6:7]
	v_fma_f64 v[12:13], v[74:75], s[14:15], -v[16:17]
	v_add_f64 v[4:5], v[14:15], v[32:33]
	v_mul_f64 v[32:33], v[58:59], s[22:23]
	v_add_f64 v[6:7], v[68:69], v[52:53]
	v_mul_f64 v[52:53], v[60:61], s[22:23]
	v_fma_f64 v[22:23], v[76:77], s[14:15], v[26:27]
	v_add_f64 v[8:9], v[8:9], v[18:19]
	v_add_f64 v[10:11], v[10:11], v[20:21]
	;; [unrolled: 1-line block ×3, first 2 shown]
	v_fma_f64 v[18:19], v[76:77], s[14:15], -v[26:27]
	v_fma_f64 v[20:21], v[74:75], s[20:21], -v[32:33]
	v_mul_f64 v[66:67], v[58:59], s[34:35]
	v_mul_f64 v[68:69], v[60:61], s[34:35]
	v_fma_f64 v[16:17], v[74:75], s[14:15], v[16:17]
	v_fma_f64 v[26:27], v[74:75], s[20:21], v[32:33]
	v_fma_f64 v[32:33], v[76:77], s[20:21], -v[52:53]
	v_add_f64 v[14:15], v[22:23], v[78:79]
	v_fma_f64 v[22:23], v[76:77], s[20:21], v[52:53]
	v_add_f64 v[18:19], v[18:19], v[28:29]
	v_add_f64 v[20:21], v[20:21], v[30:31]
	v_fma_f64 v[28:29], v[74:75], s[6:7], -v[66:67]
	v_fma_f64 v[30:31], v[76:77], s[6:7], v[68:69]
	v_add_f64 v[16:17], v[16:17], v[24:25]
	v_add_f64 v[24:25], v[26:27], v[36:37]
	;; [unrolled: 1-line block ×3, first 2 shown]
	v_fma_f64 v[32:33], v[74:75], s[6:7], v[66:67]
	v_mul_f64 v[36:37], v[58:59], s[16:17]
	v_mul_f64 v[46:47], v[60:61], s[16:17]
	v_add_f64 v[22:23], v[22:23], v[34:35]
	v_fma_f64 v[34:35], v[76:77], s[6:7], -v[68:69]
	v_add_f64 v[28:29], v[28:29], v[38:39]
	v_add_f64 v[30:31], v[30:31], v[40:41]
	v_mul_f64 v[38:39], v[58:59], s[30:31]
	v_mul_f64 v[40:41], v[60:61], s[30:31]
	v_add_f64 v[32:33], v[32:33], v[54:55]
	v_fma_f64 v[52:53], v[74:75], s[8:9], -v[36:37]
	v_fma_f64 v[54:55], v[76:77], s[8:9], v[46:47]
	v_add_f64 v[34:35], v[34:35], v[56:57]
	v_fma_f64 v[56:57], v[74:75], s[8:9], v[36:37]
	v_fma_f64 v[46:47], v[76:77], s[8:9], -v[46:47]
	v_fma_f64 v[58:59], v[74:75], s[2:3], -v[38:39]
	v_fma_f64 v[60:61], v[76:77], s[2:3], v[40:41]
	v_fma_f64 v[66:67], v[74:75], s[2:3], v[38:39]
	v_fma_f64 v[68:69], v[76:77], s[2:3], -v[40:41]
	v_add_f64 v[36:37], v[52:53], v[48:49]
	v_add_f64 v[38:39], v[54:55], v[50:51]
	;; [unrolled: 1-line block ×8, first 2 shown]
	ds_write_b128 v232, v[0:3]
	ds_write_b128 v232, v[4:7] offset:544
	ds_write_b128 v232, v[12:15] offset:1088
	;; [unrolled: 1-line block ×12, first 2 shown]
	s_waitcnt lgkmcnt(0)
	s_barrier
	ds_read_b128 v[4:7], v231
	s_add_u32 s8, s12, 0x1a90
	s_addc_u32 s9, s13, 0
	v_sub_u32_e32 v12, v230, v111
	v_cmp_ne_u32_e64 s[2:3], 0, v110
                                        ; implicit-def: $vgpr2_vgpr3
                                        ; implicit-def: $vgpr8_vgpr9
                                        ; implicit-def: $vgpr10_vgpr11
	s_and_saveexec_b64 s[6:7], s[2:3]
	s_xor_b64 s[6:7], exec, s[6:7]
	s_cbranch_execz .LBB0_20
; %bb.19:
	v_mov_b32_e32 v111, 0
	v_lshlrev_b64 v[0:1], 4, v[110:111]
	v_mov_b32_e32 v2, s9
	v_add_co_u32_e64 v0, s[2:3], s8, v0
	v_addc_co_u32_e64 v1, s[2:3], v2, v1, s[2:3]
	global_load_dwordx4 v[0:3], v[0:1], off
	ds_read_b128 v[8:11], v12 offset:7072
	s_waitcnt lgkmcnt(0)
	v_add_f64 v[13:14], v[4:5], -v[8:9]
	v_add_f64 v[15:16], v[6:7], v[10:11]
	v_add_f64 v[6:7], v[6:7], -v[10:11]
	v_add_f64 v[4:5], v[4:5], v[8:9]
	v_mul_f64 v[10:11], v[13:14], 0.5
	v_mul_f64 v[13:14], v[15:16], 0.5
	;; [unrolled: 1-line block ×3, first 2 shown]
	s_waitcnt vmcnt(0)
	v_mul_f64 v[8:9], v[10:11], v[2:3]
	v_fma_f64 v[15:16], v[13:14], v[2:3], v[6:7]
	v_fma_f64 v[2:3], v[13:14], v[2:3], -v[6:7]
	v_fma_f64 v[17:18], v[4:5], 0.5, v[8:9]
	v_fma_f64 v[4:5], v[4:5], 0.5, -v[8:9]
	v_fma_f64 v[8:9], -v[0:1], v[10:11], v[15:16]
	v_fma_f64 v[2:3], -v[0:1], v[10:11], v[2:3]
	v_mov_b32_e32 v10, v110
	v_mov_b32_e32 v11, v111
	v_fma_f64 v[6:7], v[13:14], v[0:1], v[17:18]
	v_fma_f64 v[0:1], -v[13:14], v[0:1], v[4:5]
                                        ; implicit-def: $vgpr4_vgpr5
	ds_write_b64 v231, v[6:7]
.LBB0_20:
	s_andn2_saveexec_b64 s[2:3], s[6:7]
	s_cbranch_execz .LBB0_22
; %bb.21:
	s_waitcnt lgkmcnt(0)
	v_add_f64 v[2:3], v[4:5], v[6:7]
	ds_read_b64 v[13:14], v230 offset:3544
	v_add_f64 v[0:1], v[4:5], -v[6:7]
	v_mov_b32_e32 v8, 0
	v_mov_b32_e32 v10, 0
	;; [unrolled: 1-line block ×3, first 2 shown]
	s_waitcnt lgkmcnt(0)
	v_xor_b32_e32 v14, 0x80000000, v14
	ds_write_b64 v230, v[13:14] offset:3544
	ds_write_b64 v231, v[2:3]
	v_mov_b32_e32 v2, v8
	v_mov_b32_e32 v11, 0
	;; [unrolled: 1-line block ×3, first 2 shown]
.LBB0_22:
	s_or_b64 exec, exec, s[2:3]
	s_waitcnt lgkmcnt(0)
	v_lshlrev_b64 v[4:5], 4, v[10:11]
	v_mov_b32_e32 v6, s9
	v_add_co_u32_e64 v4, s[2:3], s8, v4
	v_addc_co_u32_e64 v5, s[2:3], v6, v5, s[2:3]
	global_load_dwordx4 v[13:16], v[4:5], off offset:544
	global_load_dwordx4 v[17:20], v[4:5], off offset:1088
	ds_write_b64 v231, v[8:9] offset:8
	ds_write_b128 v12, v[0:3] offset:7072
	ds_read_b128 v[0:3], v231 offset:544
	ds_read_b128 v[6:9], v12 offset:6528
	s_waitcnt lgkmcnt(0)
	v_add_f64 v[10:11], v[0:1], -v[6:7]
	v_add_f64 v[21:22], v[2:3], v[8:9]
	v_add_f64 v[2:3], v[2:3], -v[8:9]
	v_add_f64 v[0:1], v[0:1], v[6:7]
	v_mul_f64 v[10:11], v[10:11], 0.5
	v_mul_f64 v[21:22], v[21:22], 0.5
	v_mul_f64 v[2:3], v[2:3], 0.5
	s_waitcnt vmcnt(1)
	v_mul_f64 v[6:7], v[10:11], v[15:16]
	v_fma_f64 v[8:9], v[21:22], v[15:16], v[2:3]
	v_fma_f64 v[15:16], v[21:22], v[15:16], -v[2:3]
	v_fma_f64 v[23:24], v[0:1], 0.5, v[6:7]
	v_fma_f64 v[25:26], v[0:1], 0.5, -v[6:7]
	global_load_dwordx4 v[0:3], v[4:5], off offset:1632
	v_fma_f64 v[8:9], -v[13:14], v[10:11], v[8:9]
	v_fma_f64 v[15:16], -v[13:14], v[10:11], v[15:16]
	v_fma_f64 v[6:7], v[21:22], v[13:14], v[23:24]
	v_fma_f64 v[13:14], -v[21:22], v[13:14], v[25:26]
	ds_write_b128 v231, v[6:9] offset:544
	ds_write_b128 v12, v[13:16] offset:6528
	ds_read_b128 v[6:9], v231 offset:1088
	ds_read_b128 v[13:16], v12 offset:5984
	s_waitcnt lgkmcnt(0)
	v_add_f64 v[10:11], v[6:7], -v[13:14]
	v_add_f64 v[21:22], v[8:9], v[15:16]
	v_add_f64 v[8:9], v[8:9], -v[15:16]
	v_add_f64 v[6:7], v[6:7], v[13:14]
	v_mul_f64 v[10:11], v[10:11], 0.5
	v_mul_f64 v[21:22], v[21:22], 0.5
	v_mul_f64 v[8:9], v[8:9], 0.5
	s_waitcnt vmcnt(1)
	v_mul_f64 v[13:14], v[10:11], v[19:20]
	v_fma_f64 v[15:16], v[21:22], v[19:20], v[8:9]
	v_fma_f64 v[19:20], v[21:22], v[19:20], -v[8:9]
	v_fma_f64 v[23:24], v[6:7], 0.5, v[13:14]
	v_fma_f64 v[25:26], v[6:7], 0.5, -v[13:14]
	global_load_dwordx4 v[6:9], v[4:5], off offset:2176
	v_fma_f64 v[15:16], -v[17:18], v[10:11], v[15:16]
	v_fma_f64 v[19:20], -v[17:18], v[10:11], v[19:20]
	v_fma_f64 v[13:14], v[21:22], v[17:18], v[23:24]
	v_fma_f64 v[17:18], -v[21:22], v[17:18], v[25:26]
	ds_write_b128 v231, v[13:16] offset:1088
	;; [unrolled: 23-line block ×3, first 2 shown]
	ds_write_b128 v12, v[0:3] offset:5440
	ds_read_b128 v[0:3], v231 offset:2176
	ds_read_b128 v[17:20], v12 offset:4896
	s_waitcnt lgkmcnt(0)
	v_add_f64 v[10:11], v[0:1], -v[17:18]
	v_add_f64 v[21:22], v[2:3], v[19:20]
	v_add_f64 v[2:3], v[2:3], -v[19:20]
	v_add_f64 v[0:1], v[0:1], v[17:18]
	v_mul_f64 v[10:11], v[10:11], 0.5
	v_mul_f64 v[19:20], v[21:22], 0.5
	;; [unrolled: 1-line block ×3, first 2 shown]
	s_waitcnt vmcnt(1)
	v_mul_f64 v[17:18], v[10:11], v[8:9]
	v_fma_f64 v[21:22], v[19:20], v[8:9], v[2:3]
	v_fma_f64 v[8:9], v[19:20], v[8:9], -v[2:3]
	v_fma_f64 v[23:24], v[0:1], 0.5, v[17:18]
	v_fma_f64 v[17:18], v[0:1], 0.5, -v[17:18]
	v_fma_f64 v[2:3], -v[6:7], v[10:11], v[21:22]
	v_fma_f64 v[8:9], -v[6:7], v[10:11], v[8:9]
	v_fma_f64 v[0:1], v[19:20], v[6:7], v[23:24]
	v_fma_f64 v[6:7], -v[19:20], v[6:7], v[17:18]
	ds_write_b128 v231, v[0:3] offset:2176
	ds_write_b128 v12, v[6:9] offset:4896
	ds_read_b128 v[0:3], v231 offset:2720
	ds_read_b128 v[6:9], v12 offset:4352
	s_waitcnt lgkmcnt(0)
	v_add_f64 v[10:11], v[0:1], -v[6:7]
	v_add_f64 v[17:18], v[2:3], v[8:9]
	v_add_f64 v[2:3], v[2:3], -v[8:9]
	v_add_f64 v[0:1], v[0:1], v[6:7]
	v_mul_f64 v[8:9], v[10:11], 0.5
	v_mul_f64 v[10:11], v[17:18], 0.5
	;; [unrolled: 1-line block ×3, first 2 shown]
	s_waitcnt vmcnt(0)
	v_mul_f64 v[6:7], v[8:9], v[15:16]
	v_fma_f64 v[17:18], v[10:11], v[15:16], v[2:3]
	v_fma_f64 v[15:16], v[10:11], v[15:16], -v[2:3]
	v_fma_f64 v[19:20], v[0:1], 0.5, v[6:7]
	v_fma_f64 v[6:7], v[0:1], 0.5, -v[6:7]
	v_fma_f64 v[2:3], -v[13:14], v[8:9], v[17:18]
	v_fma_f64 v[8:9], -v[13:14], v[8:9], v[15:16]
	v_fma_f64 v[0:1], v[10:11], v[13:14], v[19:20]
	v_fma_f64 v[6:7], -v[10:11], v[13:14], v[6:7]
	ds_write_b128 v231, v[0:3] offset:2720
	ds_write_b128 v12, v[6:9] offset:4352
	s_and_saveexec_b64 s[2:3], vcc
	s_cbranch_execz .LBB0_24
; %bb.23:
	global_load_dwordx4 v[0:3], v[4:5], off offset:3264
	ds_read_b128 v[4:7], v231 offset:3264
	ds_read_b128 v[8:11], v12 offset:3808
	s_waitcnt lgkmcnt(0)
	v_add_f64 v[13:14], v[4:5], -v[8:9]
	v_add_f64 v[15:16], v[6:7], v[10:11]
	v_add_f64 v[6:7], v[6:7], -v[10:11]
	v_add_f64 v[4:5], v[4:5], v[8:9]
	v_mul_f64 v[10:11], v[13:14], 0.5
	v_mul_f64 v[13:14], v[15:16], 0.5
	;; [unrolled: 1-line block ×3, first 2 shown]
	s_waitcnt vmcnt(0)
	v_mul_f64 v[8:9], v[10:11], v[2:3]
	v_fma_f64 v[15:16], v[13:14], v[2:3], v[6:7]
	v_fma_f64 v[2:3], v[13:14], v[2:3], -v[6:7]
	v_fma_f64 v[6:7], v[4:5], 0.5, v[8:9]
	v_fma_f64 v[17:18], v[4:5], 0.5, -v[8:9]
	v_fma_f64 v[4:5], -v[0:1], v[10:11], v[15:16]
	v_fma_f64 v[8:9], -v[0:1], v[10:11], v[2:3]
	v_fma_f64 v[2:3], v[13:14], v[0:1], v[6:7]
	v_fma_f64 v[6:7], -v[13:14], v[0:1], v[17:18]
	ds_write_b128 v231, v[2:5] offset:3264
	ds_write_b128 v12, v[6:9] offset:3808
.LBB0_24:
	s_or_b64 exec, exec, s[2:3]
	s_waitcnt lgkmcnt(0)
	s_barrier
	s_and_saveexec_b64 s[2:3], s[0:1]
	s_cbranch_execz .LBB0_27
; %bb.25:
	v_mul_lo_u32 v0, s5, v112
	v_mul_lo_u32 v3, s4, v113
	v_mad_u64_u32 v[1:2], s[0:1], s4, v112, 0
	v_mov_b32_e32 v7, s11
	v_mov_b32_e32 v111, 0
	v_add3_u32 v2, v2, v3, v0
	v_lshlrev_b64 v[1:2], 4, v[1:2]
	v_lshl_add_u32 v0, v110, 4, v230
	v_add_co_u32_e32 v1, vcc, s10, v1
	v_addc_co_u32_e32 v9, vcc, v7, v2, vcc
	v_lshlrev_b64 v[7:8], 4, v[108:109]
	ds_read_b128 v[3:6], v0
	v_add_co_u32_e32 v2, vcc, v1, v7
	v_addc_co_u32_e32 v1, vcc, v9, v8, vcc
	v_lshlrev_b64 v[7:8], 4, v[110:111]
	v_add_co_u32_e32 v11, vcc, v2, v7
	v_addc_co_u32_e32 v12, vcc, v1, v8, vcc
	ds_read_b128 v[7:10], v0 offset:544
	s_waitcnt lgkmcnt(1)
	global_store_dwordx4 v[11:12], v[3:6], off
	s_nop 0
	v_add_u32_e32 v3, 34, v110
	v_mov_b32_e32 v4, v111
	v_lshlrev_b64 v[3:4], 4, v[3:4]
	v_add_co_u32_e32 v3, vcc, v2, v3
	v_addc_co_u32_e32 v4, vcc, v1, v4, vcc
	s_waitcnt lgkmcnt(0)
	global_store_dwordx4 v[3:4], v[7:10], off
	ds_read_b128 v[3:6], v0 offset:1088
	v_add_u32_e32 v7, 0x44, v110
	v_mov_b32_e32 v8, v111
	v_lshlrev_b64 v[7:8], 4, v[7:8]
	v_add_co_u32_e32 v11, vcc, v2, v7
	v_addc_co_u32_e32 v12, vcc, v1, v8, vcc
	ds_read_b128 v[7:10], v0 offset:1632
	s_waitcnt lgkmcnt(1)
	global_store_dwordx4 v[11:12], v[3:6], off
	s_nop 0
	v_add_u32_e32 v3, 0x66, v110
	v_mov_b32_e32 v4, v111
	v_lshlrev_b64 v[3:4], 4, v[3:4]
	v_add_co_u32_e32 v3, vcc, v2, v3
	v_addc_co_u32_e32 v4, vcc, v1, v4, vcc
	s_waitcnt lgkmcnt(0)
	global_store_dwordx4 v[3:4], v[7:10], off
	ds_read_b128 v[3:6], v0 offset:2176
	v_add_u32_e32 v7, 0x88, v110
	v_mov_b32_e32 v8, v111
	;; [unrolled: 17-line block ×6, first 2 shown]
	v_lshlrev_b64 v[7:8], 4, v[7:8]
	v_add_co_u32_e32 v7, vcc, v2, v7
	v_addc_co_u32_e32 v8, vcc, v1, v8, vcc
	v_cmp_eq_u32_e32 vcc, 33, v110
	s_waitcnt lgkmcnt(0)
	global_store_dwordx4 v[7:8], v[3:6], off
	s_and_b64 exec, exec, vcc
	s_cbranch_execz .LBB0_27
; %bb.26:
	ds_read_b128 v[3:6], v0 offset:6544
	v_add_co_u32_e32 v0, vcc, 0x1000, v2
	v_addc_co_u32_e32 v1, vcc, 0, v1, vcc
	s_waitcnt lgkmcnt(0)
	global_store_dwordx4 v[0:1], v[3:6], off offset:2976
.LBB0_27:
	s_endpgm
	.section	.rodata,"a",@progbits
	.p2align	6, 0x0
	.amdhsa_kernel fft_rtc_fwd_len442_factors_17_2_13_wgs_238_tpt_34_halfLds_dp_op_CI_CI_unitstride_sbrr_R2C_dirReg
		.amdhsa_group_segment_fixed_size 0
		.amdhsa_private_segment_fixed_size 52
		.amdhsa_kernarg_size 104
		.amdhsa_user_sgpr_count 6
		.amdhsa_user_sgpr_private_segment_buffer 1
		.amdhsa_user_sgpr_dispatch_ptr 0
		.amdhsa_user_sgpr_queue_ptr 0
		.amdhsa_user_sgpr_kernarg_segment_ptr 1
		.amdhsa_user_sgpr_dispatch_id 0
		.amdhsa_user_sgpr_flat_scratch_init 0
		.amdhsa_user_sgpr_private_segment_size 0
		.amdhsa_uses_dynamic_stack 0
		.amdhsa_system_sgpr_private_segment_wavefront_offset 1
		.amdhsa_system_sgpr_workgroup_id_x 1
		.amdhsa_system_sgpr_workgroup_id_y 0
		.amdhsa_system_sgpr_workgroup_id_z 0
		.amdhsa_system_sgpr_workgroup_info 0
		.amdhsa_system_vgpr_workitem_id 0
		.amdhsa_next_free_vgpr 256
		.amdhsa_next_free_sgpr 64
		.amdhsa_reserve_vcc 1
		.amdhsa_reserve_flat_scratch 0
		.amdhsa_float_round_mode_32 0
		.amdhsa_float_round_mode_16_64 0
		.amdhsa_float_denorm_mode_32 3
		.amdhsa_float_denorm_mode_16_64 3
		.amdhsa_dx10_clamp 1
		.amdhsa_ieee_mode 1
		.amdhsa_fp16_overflow 0
		.amdhsa_exception_fp_ieee_invalid_op 0
		.amdhsa_exception_fp_denorm_src 0
		.amdhsa_exception_fp_ieee_div_zero 0
		.amdhsa_exception_fp_ieee_overflow 0
		.amdhsa_exception_fp_ieee_underflow 0
		.amdhsa_exception_fp_ieee_inexact 0
		.amdhsa_exception_int_div_zero 0
	.end_amdhsa_kernel
	.text
.Lfunc_end0:
	.size	fft_rtc_fwd_len442_factors_17_2_13_wgs_238_tpt_34_halfLds_dp_op_CI_CI_unitstride_sbrr_R2C_dirReg, .Lfunc_end0-fft_rtc_fwd_len442_factors_17_2_13_wgs_238_tpt_34_halfLds_dp_op_CI_CI_unitstride_sbrr_R2C_dirReg
                                        ; -- End function
	.section	.AMDGPU.csdata,"",@progbits
; Kernel info:
; codeLenInByte = 16160
; NumSgprs: 68
; NumVgprs: 256
; ScratchSize: 52
; MemoryBound: 0
; FloatMode: 240
; IeeeMode: 1
; LDSByteSize: 0 bytes/workgroup (compile time only)
; SGPRBlocks: 8
; VGPRBlocks: 63
; NumSGPRsForWavesPerEU: 68
; NumVGPRsForWavesPerEU: 256
; Occupancy: 1
; WaveLimiterHint : 1
; COMPUTE_PGM_RSRC2:SCRATCH_EN: 1
; COMPUTE_PGM_RSRC2:USER_SGPR: 6
; COMPUTE_PGM_RSRC2:TRAP_HANDLER: 0
; COMPUTE_PGM_RSRC2:TGID_X_EN: 1
; COMPUTE_PGM_RSRC2:TGID_Y_EN: 0
; COMPUTE_PGM_RSRC2:TGID_Z_EN: 0
; COMPUTE_PGM_RSRC2:TIDIG_COMP_CNT: 0
	.type	__hip_cuid_22e80deebbee3d73,@object ; @__hip_cuid_22e80deebbee3d73
	.section	.bss,"aw",@nobits
	.globl	__hip_cuid_22e80deebbee3d73
__hip_cuid_22e80deebbee3d73:
	.byte	0                               ; 0x0
	.size	__hip_cuid_22e80deebbee3d73, 1

	.ident	"AMD clang version 19.0.0git (https://github.com/RadeonOpenCompute/llvm-project roc-6.4.0 25133 c7fe45cf4b819c5991fe208aaa96edf142730f1d)"
	.section	".note.GNU-stack","",@progbits
	.addrsig
	.addrsig_sym __hip_cuid_22e80deebbee3d73
	.amdgpu_metadata
---
amdhsa.kernels:
  - .args:
      - .actual_access:  read_only
        .address_space:  global
        .offset:         0
        .size:           8
        .value_kind:     global_buffer
      - .offset:         8
        .size:           8
        .value_kind:     by_value
      - .actual_access:  read_only
        .address_space:  global
        .offset:         16
        .size:           8
        .value_kind:     global_buffer
      - .actual_access:  read_only
        .address_space:  global
        .offset:         24
        .size:           8
        .value_kind:     global_buffer
      - .actual_access:  read_only
        .address_space:  global
        .offset:         32
        .size:           8
        .value_kind:     global_buffer
      - .offset:         40
        .size:           8
        .value_kind:     by_value
      - .actual_access:  read_only
        .address_space:  global
        .offset:         48
        .size:           8
        .value_kind:     global_buffer
      - .actual_access:  read_only
        .address_space:  global
        .offset:         56
        .size:           8
        .value_kind:     global_buffer
      - .offset:         64
        .size:           4
        .value_kind:     by_value
      - .actual_access:  read_only
        .address_space:  global
        .offset:         72
        .size:           8
        .value_kind:     global_buffer
      - .actual_access:  read_only
        .address_space:  global
        .offset:         80
        .size:           8
        .value_kind:     global_buffer
      - .actual_access:  read_only
        .address_space:  global
        .offset:         88
        .size:           8
        .value_kind:     global_buffer
      - .actual_access:  write_only
        .address_space:  global
        .offset:         96
        .size:           8
        .value_kind:     global_buffer
    .group_segment_fixed_size: 0
    .kernarg_segment_align: 8
    .kernarg_segment_size: 104
    .language:       OpenCL C
    .language_version:
      - 2
      - 0
    .max_flat_workgroup_size: 238
    .name:           fft_rtc_fwd_len442_factors_17_2_13_wgs_238_tpt_34_halfLds_dp_op_CI_CI_unitstride_sbrr_R2C_dirReg
    .private_segment_fixed_size: 52
    .sgpr_count:     68
    .sgpr_spill_count: 0
    .symbol:         fft_rtc_fwd_len442_factors_17_2_13_wgs_238_tpt_34_halfLds_dp_op_CI_CI_unitstride_sbrr_R2C_dirReg.kd
    .uniform_work_group_size: 1
    .uses_dynamic_stack: false
    .vgpr_count:     256
    .vgpr_spill_count: 12
    .wavefront_size: 64
amdhsa.target:   amdgcn-amd-amdhsa--gfx906
amdhsa.version:
  - 1
  - 2
...

	.end_amdgpu_metadata
